;; amdgpu-corpus repo=ROCm/rocFFT kind=compiled arch=gfx1201 opt=O3
	.text
	.amdgcn_target "amdgcn-amd-amdhsa--gfx1201"
	.amdhsa_code_object_version 6
	.protected	fft_rtc_fwd_len1400_factors_2_2_2_5_7_5_wgs_56_tpt_56_halfLds_half_ip_CI_sbrr_dirReg ; -- Begin function fft_rtc_fwd_len1400_factors_2_2_2_5_7_5_wgs_56_tpt_56_halfLds_half_ip_CI_sbrr_dirReg
	.globl	fft_rtc_fwd_len1400_factors_2_2_2_5_7_5_wgs_56_tpt_56_halfLds_half_ip_CI_sbrr_dirReg
	.p2align	8
	.type	fft_rtc_fwd_len1400_factors_2_2_2_5_7_5_wgs_56_tpt_56_halfLds_half_ip_CI_sbrr_dirReg,@function
fft_rtc_fwd_len1400_factors_2_2_2_5_7_5_wgs_56_tpt_56_halfLds_half_ip_CI_sbrr_dirReg: ; @fft_rtc_fwd_len1400_factors_2_2_2_5_7_5_wgs_56_tpt_56_halfLds_half_ip_CI_sbrr_dirReg
; %bb.0:
	s_clause 0x2
	s_load_b64 s[12:13], s[0:1], 0x18
	s_load_b128 s[4:7], s[0:1], 0x0
	s_load_b64 s[10:11], s[0:1], 0x50
	v_mul_u32_u24_e32 v1, 0x493, v0
	v_mov_b32_e32 v3, 0
	s_delay_alu instid0(VALU_DEP_2) | instskip(NEXT) | instid1(VALU_DEP_1)
	v_lshrrev_b32_e32 v1, 16, v1
	v_add_nc_u32_e32 v5, ttmp9, v1
	v_mov_b32_e32 v1, 0
	v_mov_b32_e32 v2, 0
	;; [unrolled: 1-line block ×3, first 2 shown]
	s_wait_kmcnt 0x0
	s_load_b64 s[8:9], s[12:13], 0x0
	v_cmp_lt_u64_e64 s2, s[6:7], 2
	s_delay_alu instid0(VALU_DEP_1)
	s_and_b32 vcc_lo, exec_lo, s2
	s_cbranch_vccnz .LBB0_8
; %bb.1:
	s_load_b64 s[2:3], s[0:1], 0x10
	v_mov_b32_e32 v1, 0
	v_mov_b32_e32 v2, 0
	s_add_nc_u64 s[14:15], s[12:13], 8
	s_mov_b64 s[16:17], 1
	s_wait_kmcnt 0x0
	s_add_nc_u64 s[18:19], s[2:3], 8
	s_mov_b32 s3, 0
.LBB0_2:                                ; =>This Inner Loop Header: Depth=1
	s_load_b64 s[20:21], s[18:19], 0x0
                                        ; implicit-def: $vgpr7_vgpr8
	s_mov_b32 s2, exec_lo
	s_wait_kmcnt 0x0
	v_or_b32_e32 v4, s21, v6
	s_delay_alu instid0(VALU_DEP_1)
	v_cmpx_ne_u64_e32 0, v[3:4]
	s_wait_alu 0xfffe
	s_xor_b32 s22, exec_lo, s2
	s_cbranch_execz .LBB0_4
; %bb.3:                                ;   in Loop: Header=BB0_2 Depth=1
	s_cvt_f32_u32 s2, s20
	s_cvt_f32_u32 s23, s21
	s_sub_nc_u64 s[26:27], 0, s[20:21]
	s_wait_alu 0xfffe
	s_delay_alu instid0(SALU_CYCLE_1) | instskip(SKIP_1) | instid1(SALU_CYCLE_2)
	s_fmamk_f32 s2, s23, 0x4f800000, s2
	s_wait_alu 0xfffe
	v_s_rcp_f32 s2, s2
	s_delay_alu instid0(TRANS32_DEP_1) | instskip(SKIP_1) | instid1(SALU_CYCLE_2)
	s_mul_f32 s2, s2, 0x5f7ffffc
	s_wait_alu 0xfffe
	s_mul_f32 s23, s2, 0x2f800000
	s_wait_alu 0xfffe
	s_delay_alu instid0(SALU_CYCLE_2) | instskip(SKIP_1) | instid1(SALU_CYCLE_2)
	s_trunc_f32 s23, s23
	s_wait_alu 0xfffe
	s_fmamk_f32 s2, s23, 0xcf800000, s2
	s_cvt_u32_f32 s25, s23
	s_wait_alu 0xfffe
	s_delay_alu instid0(SALU_CYCLE_1) | instskip(SKIP_1) | instid1(SALU_CYCLE_2)
	s_cvt_u32_f32 s24, s2
	s_wait_alu 0xfffe
	s_mul_u64 s[28:29], s[26:27], s[24:25]
	s_wait_alu 0xfffe
	s_mul_hi_u32 s31, s24, s29
	s_mul_i32 s30, s24, s29
	s_mul_hi_u32 s2, s24, s28
	s_mul_i32 s33, s25, s28
	s_wait_alu 0xfffe
	s_add_nc_u64 s[30:31], s[2:3], s[30:31]
	s_mul_hi_u32 s23, s25, s28
	s_mul_hi_u32 s34, s25, s29
	s_add_co_u32 s2, s30, s33
	s_wait_alu 0xfffe
	s_add_co_ci_u32 s2, s31, s23
	s_mul_i32 s28, s25, s29
	s_add_co_ci_u32 s29, s34, 0
	s_wait_alu 0xfffe
	s_add_nc_u64 s[28:29], s[2:3], s[28:29]
	s_wait_alu 0xfffe
	v_add_co_u32 v4, s2, s24, s28
	s_delay_alu instid0(VALU_DEP_1) | instskip(SKIP_1) | instid1(VALU_DEP_1)
	s_cmp_lg_u32 s2, 0
	s_add_co_ci_u32 s25, s25, s29
	v_readfirstlane_b32 s24, v4
	s_wait_alu 0xfffe
	s_delay_alu instid0(VALU_DEP_1)
	s_mul_u64 s[26:27], s[26:27], s[24:25]
	s_wait_alu 0xfffe
	s_mul_hi_u32 s29, s24, s27
	s_mul_i32 s28, s24, s27
	s_mul_hi_u32 s2, s24, s26
	s_mul_i32 s30, s25, s26
	s_wait_alu 0xfffe
	s_add_nc_u64 s[28:29], s[2:3], s[28:29]
	s_mul_hi_u32 s23, s25, s26
	s_mul_hi_u32 s24, s25, s27
	s_wait_alu 0xfffe
	s_add_co_u32 s2, s28, s30
	s_add_co_ci_u32 s2, s29, s23
	s_mul_i32 s26, s25, s27
	s_add_co_ci_u32 s27, s24, 0
	s_wait_alu 0xfffe
	s_add_nc_u64 s[26:27], s[2:3], s[26:27]
	s_wait_alu 0xfffe
	v_add_co_u32 v4, s2, v4, s26
	s_delay_alu instid0(VALU_DEP_1) | instskip(SKIP_1) | instid1(VALU_DEP_1)
	s_cmp_lg_u32 s2, 0
	s_add_co_ci_u32 s2, s25, s27
	v_mul_hi_u32 v13, v5, v4
	s_wait_alu 0xfffe
	v_mad_co_u64_u32 v[7:8], null, v5, s2, 0
	v_mad_co_u64_u32 v[9:10], null, v6, v4, 0
	;; [unrolled: 1-line block ×3, first 2 shown]
	s_delay_alu instid0(VALU_DEP_3) | instskip(SKIP_1) | instid1(VALU_DEP_4)
	v_add_co_u32 v4, vcc_lo, v13, v7
	s_wait_alu 0xfffd
	v_add_co_ci_u32_e32 v7, vcc_lo, 0, v8, vcc_lo
	s_delay_alu instid0(VALU_DEP_2) | instskip(SKIP_1) | instid1(VALU_DEP_2)
	v_add_co_u32 v4, vcc_lo, v4, v9
	s_wait_alu 0xfffd
	v_add_co_ci_u32_e32 v4, vcc_lo, v7, v10, vcc_lo
	s_wait_alu 0xfffd
	v_add_co_ci_u32_e32 v7, vcc_lo, 0, v12, vcc_lo
	s_delay_alu instid0(VALU_DEP_2) | instskip(SKIP_1) | instid1(VALU_DEP_2)
	v_add_co_u32 v4, vcc_lo, v4, v11
	s_wait_alu 0xfffd
	v_add_co_ci_u32_e32 v9, vcc_lo, 0, v7, vcc_lo
	s_delay_alu instid0(VALU_DEP_2) | instskip(SKIP_1) | instid1(VALU_DEP_3)
	v_mul_lo_u32 v10, s21, v4
	v_mad_co_u64_u32 v[7:8], null, s20, v4, 0
	v_mul_lo_u32 v11, s20, v9
	s_delay_alu instid0(VALU_DEP_2) | instskip(NEXT) | instid1(VALU_DEP_2)
	v_sub_co_u32 v7, vcc_lo, v5, v7
	v_add3_u32 v8, v8, v11, v10
	s_delay_alu instid0(VALU_DEP_1) | instskip(SKIP_1) | instid1(VALU_DEP_1)
	v_sub_nc_u32_e32 v10, v6, v8
	s_wait_alu 0xfffd
	v_subrev_co_ci_u32_e64 v10, s2, s21, v10, vcc_lo
	v_add_co_u32 v11, s2, v4, 2
	s_wait_alu 0xf1ff
	v_add_co_ci_u32_e64 v12, s2, 0, v9, s2
	v_sub_co_u32 v13, s2, v7, s20
	v_sub_co_ci_u32_e32 v8, vcc_lo, v6, v8, vcc_lo
	s_wait_alu 0xf1ff
	v_subrev_co_ci_u32_e64 v10, s2, 0, v10, s2
	s_delay_alu instid0(VALU_DEP_3) | instskip(NEXT) | instid1(VALU_DEP_3)
	v_cmp_le_u32_e32 vcc_lo, s20, v13
	v_cmp_eq_u32_e64 s2, s21, v8
	s_wait_alu 0xfffd
	v_cndmask_b32_e64 v13, 0, -1, vcc_lo
	v_cmp_le_u32_e32 vcc_lo, s21, v10
	s_wait_alu 0xfffd
	v_cndmask_b32_e64 v14, 0, -1, vcc_lo
	v_cmp_le_u32_e32 vcc_lo, s20, v7
	;; [unrolled: 3-line block ×3, first 2 shown]
	s_wait_alu 0xfffd
	v_cndmask_b32_e64 v15, 0, -1, vcc_lo
	v_cmp_eq_u32_e32 vcc_lo, s21, v10
	s_wait_alu 0xf1ff
	s_delay_alu instid0(VALU_DEP_2)
	v_cndmask_b32_e64 v7, v15, v7, s2
	s_wait_alu 0xfffd
	v_cndmask_b32_e32 v10, v14, v13, vcc_lo
	v_add_co_u32 v13, vcc_lo, v4, 1
	s_wait_alu 0xfffd
	v_add_co_ci_u32_e32 v14, vcc_lo, 0, v9, vcc_lo
	s_delay_alu instid0(VALU_DEP_3) | instskip(SKIP_2) | instid1(VALU_DEP_3)
	v_cmp_ne_u32_e32 vcc_lo, 0, v10
	s_wait_alu 0xfffd
	v_cndmask_b32_e32 v10, v13, v11, vcc_lo
	v_cndmask_b32_e32 v8, v14, v12, vcc_lo
	v_cmp_ne_u32_e32 vcc_lo, 0, v7
	s_wait_alu 0xfffd
	s_delay_alu instid0(VALU_DEP_2)
	v_dual_cndmask_b32 v7, v4, v10 :: v_dual_cndmask_b32 v8, v9, v8
.LBB0_4:                                ;   in Loop: Header=BB0_2 Depth=1
	s_wait_alu 0xfffe
	s_and_not1_saveexec_b32 s2, s22
	s_cbranch_execz .LBB0_6
; %bb.5:                                ;   in Loop: Header=BB0_2 Depth=1
	v_cvt_f32_u32_e32 v4, s20
	s_sub_co_i32 s22, 0, s20
	s_delay_alu instid0(VALU_DEP_1) | instskip(NEXT) | instid1(TRANS32_DEP_1)
	v_rcp_iflag_f32_e32 v4, v4
	v_mul_f32_e32 v4, 0x4f7ffffe, v4
	s_delay_alu instid0(VALU_DEP_1) | instskip(SKIP_1) | instid1(VALU_DEP_1)
	v_cvt_u32_f32_e32 v4, v4
	s_wait_alu 0xfffe
	v_mul_lo_u32 v7, s22, v4
	s_delay_alu instid0(VALU_DEP_1) | instskip(NEXT) | instid1(VALU_DEP_1)
	v_mul_hi_u32 v7, v4, v7
	v_add_nc_u32_e32 v4, v4, v7
	s_delay_alu instid0(VALU_DEP_1) | instskip(NEXT) | instid1(VALU_DEP_1)
	v_mul_hi_u32 v4, v5, v4
	v_mul_lo_u32 v7, v4, s20
	v_add_nc_u32_e32 v8, 1, v4
	s_delay_alu instid0(VALU_DEP_2) | instskip(NEXT) | instid1(VALU_DEP_1)
	v_sub_nc_u32_e32 v7, v5, v7
	v_subrev_nc_u32_e32 v9, s20, v7
	v_cmp_le_u32_e32 vcc_lo, s20, v7
	s_wait_alu 0xfffd
	s_delay_alu instid0(VALU_DEP_2) | instskip(NEXT) | instid1(VALU_DEP_1)
	v_dual_cndmask_b32 v7, v7, v9 :: v_dual_cndmask_b32 v4, v4, v8
	v_cmp_le_u32_e32 vcc_lo, s20, v7
	s_delay_alu instid0(VALU_DEP_2) | instskip(SKIP_1) | instid1(VALU_DEP_1)
	v_add_nc_u32_e32 v8, 1, v4
	s_wait_alu 0xfffd
	v_dual_cndmask_b32 v7, v4, v8 :: v_dual_mov_b32 v8, v3
.LBB0_6:                                ;   in Loop: Header=BB0_2 Depth=1
	s_wait_alu 0xfffe
	s_or_b32 exec_lo, exec_lo, s2
	s_load_b64 s[22:23], s[14:15], 0x0
	s_delay_alu instid0(VALU_DEP_1)
	v_mul_lo_u32 v4, v8, s20
	v_mul_lo_u32 v11, v7, s21
	v_mad_co_u64_u32 v[9:10], null, v7, s20, 0
	s_add_nc_u64 s[16:17], s[16:17], 1
	s_add_nc_u64 s[14:15], s[14:15], 8
	s_wait_alu 0xfffe
	v_cmp_ge_u64_e64 s2, s[16:17], s[6:7]
	s_add_nc_u64 s[18:19], s[18:19], 8
	s_delay_alu instid0(VALU_DEP_2) | instskip(NEXT) | instid1(VALU_DEP_3)
	v_add3_u32 v4, v10, v11, v4
	v_sub_co_u32 v5, vcc_lo, v5, v9
	s_wait_alu 0xfffd
	s_delay_alu instid0(VALU_DEP_2) | instskip(SKIP_3) | instid1(VALU_DEP_2)
	v_sub_co_ci_u32_e32 v4, vcc_lo, v6, v4, vcc_lo
	s_and_b32 vcc_lo, exec_lo, s2
	s_wait_kmcnt 0x0
	v_mul_lo_u32 v6, s23, v5
	v_mul_lo_u32 v4, s22, v4
	v_mad_co_u64_u32 v[1:2], null, s22, v5, v[1:2]
	s_delay_alu instid0(VALU_DEP_1)
	v_add3_u32 v2, v6, v2, v4
	s_wait_alu 0xfffe
	s_cbranch_vccnz .LBB0_9
; %bb.7:                                ;   in Loop: Header=BB0_2 Depth=1
	v_dual_mov_b32 v5, v7 :: v_dual_mov_b32 v6, v8
	s_branch .LBB0_2
.LBB0_8:
	v_dual_mov_b32 v8, v6 :: v_dual_mov_b32 v7, v5
.LBB0_9:
	s_lshl_b64 s[2:3], s[6:7], 3
	v_mul_hi_u32 v3, 0x4924925, v0
	s_wait_alu 0xfffe
	s_add_nc_u64 s[2:3], s[12:13], s[2:3]
	s_load_b64 s[0:1], s[0:1], 0x20
	s_load_b64 s[2:3], s[2:3], 0x0
                                        ; implicit-def: $vgpr18
                                        ; implicit-def: $vgpr19
                                        ; implicit-def: $vgpr20
                                        ; implicit-def: $vgpr48
                                        ; implicit-def: $vgpr47
                                        ; implicit-def: $vgpr46
                                        ; implicit-def: $vgpr45
                                        ; implicit-def: $vgpr44
                                        ; implicit-def: $vgpr43
	s_delay_alu instid0(VALU_DEP_1) | instskip(NEXT) | instid1(VALU_DEP_1)
	v_mul_u32_u24_e32 v3, 56, v3
	v_sub_nc_u32_e32 v9, v0, v3
	s_delay_alu instid0(VALU_DEP_1)
	v_add_nc_u32_e32 v15, 56, v9
	v_add_nc_u32_e32 v13, 0x70, v9
	;; [unrolled: 1-line block ×4, first 2 shown]
	s_wait_kmcnt 0x0
	v_cmp_gt_u64_e32 vcc_lo, s[0:1], v[7:8]
	v_mul_lo_u32 v4, s2, v8
	v_mul_lo_u32 v5, s3, v7
	v_mad_co_u64_u32 v[0:1], null, s2, v7, v[1:2]
	v_cmp_le_u64_e64 s0, s[0:1], v[7:8]
	v_add_nc_u32_e32 v17, 0x118, v9
	v_add_nc_u32_e32 v14, 0x150, v9
	;; [unrolled: 1-line block ×3, first 2 shown]
	v_or_b32_e32 v10, 0x1c0, v9
	v_add_nc_u32_e32 v3, 0x1f8, v9
	v_add_nc_u32_e32 v16, 0x230, v9
	v_add3_u32 v1, v5, v1, v4
	v_add_nc_u32_e32 v7, 0x268, v9
                                        ; implicit-def: $sgpr2
                                        ; implicit-def: $vgpr2
	s_and_saveexec_b32 s1, s0
	s_wait_alu 0xfffe
	s_xor_b32 s0, exec_lo, s1
	s_cbranch_execz .LBB0_11
; %bb.10:
	v_add_nc_u32_e32 v18, 56, v9
	v_add_nc_u32_e32 v19, 0x70, v9
	v_add_nc_u32_e32 v20, 0xa8, v9
	v_add_nc_u32_e32 v2, 0xe0, v9
	v_add_nc_u32_e32 v48, 0x118, v9
	v_add_nc_u32_e32 v47, 0x150, v9
	v_add_nc_u32_e32 v46, 0x188, v9
	v_or_b32_e32 v45, 0x1c0, v9
	v_add_nc_u32_e32 v3, 0x1f8, v9
	v_add_nc_u32_e32 v44, 0x230, v9
	;; [unrolled: 1-line block ×3, first 2 shown]
	s_mov_b32 s2, 0
.LBB0_11:
	s_wait_alu 0xfffe
	s_or_saveexec_b32 s1, s0
	v_lshlrev_b64_e32 v[4:5], 2, v[0:1]
	v_mov_b32_e32 v26, s2
	v_mov_b32_e32 v50, s2
                                        ; implicit-def: $vgpr27
                                        ; implicit-def: $vgpr0
                                        ; implicit-def: $vgpr35
                                        ; implicit-def: $vgpr21
                                        ; implicit-def: $vgpr34
                                        ; implicit-def: $vgpr1
                                        ; implicit-def: $vgpr38
                                        ; implicit-def: $vgpr23
                                        ; implicit-def: $vgpr37
                                        ; implicit-def: $vgpr22
                                        ; implicit-def: $vgpr53
                                        ; implicit-def: $vgpr24
                                        ; implicit-def: $vgpr36
                                        ; implicit-def: $vgpr8
                                        ; implicit-def: $vgpr54
                                        ; implicit-def: $vgpr25
                                        ; implicit-def: $vgpr39
                                        ; implicit-def: $vgpr28
                                        ; implicit-def: $vgpr56
                                        ; implicit-def: $vgpr31
                                        ; implicit-def: $vgpr55
                                        ; implicit-def: $vgpr29
                                        ; implicit-def: $vgpr58
                                        ; implicit-def: $vgpr33
                                        ; implicit-def: $vgpr57
                                        ; implicit-def: $vgpr30
                                        ; implicit-def: $vgpr64
                                        ; implicit-def: $vgpr41
                                        ; implicit-def: $vgpr59
                                        ; implicit-def: $vgpr40
                                        ; implicit-def: $vgpr72
                                        ; implicit-def: $vgpr42
                                        ; implicit-def: $vgpr63
                                        ; implicit-def: $vgpr49
                                        ; implicit-def: $vgpr73
                                        ; implicit-def: $vgpr60
                                        ; implicit-def: $vgpr65
                                        ; implicit-def: $vgpr51
                                        ; implicit-def: $vgpr75
                                        ; implicit-def: $vgpr62
                                        ; implicit-def: $vgpr74
                                        ; implicit-def: $vgpr52
                                        ; implicit-def: $vgpr79
                                        ; implicit-def: $vgpr66
                                        ; implicit-def: $vgpr78
                                        ; implicit-def: $vgpr61
                                        ; implicit-def: $vgpr80
                                        ; implicit-def: $vgpr67
                                        ; implicit-def: $vgpr32
                                        ; implicit-def: $vgpr68
	s_wait_alu 0xfffe
	s_xor_b32 exec_lo, exec_lo, s1
	s_cbranch_execz .LBB0_15
; %bb.12:
	v_add_nc_u32_e32 v8, 0x2bc, v9
	v_mad_co_u64_u32 v[0:1], null, s8, v9, 0
	v_mad_co_u64_u32 v[21:22], null, s8, v15, 0
	s_delay_alu instid0(VALU_DEP_3)
	v_mad_co_u64_u32 v[19:20], null, s8, v8, 0
	v_add_nc_u32_e32 v28, 0x2f4, v9
	v_add_nc_u32_e32 v42, 0x39c, v9
	v_mad_co_u64_u32 v[1:2], null, s9, v9, v[1:2]
	v_add_nc_u32_e32 v46, 0x444, v9
	v_add_nc_u32_e32 v50, 0x47c, v9
	v_mov_b32_e32 v2, v20
	v_add_nc_u32_e32 v52, 0x524, v9
	s_mov_b32 s2, exec_lo
                                        ; implicit-def: $vgpr68
	v_lshlrev_b64_e32 v[0:1], 2, v[0:1]
	s_delay_alu instid0(VALU_DEP_3) | instskip(SKIP_2) | instid1(VALU_DEP_2)
	v_mad_co_u64_u32 v[23:24], null, s9, v8, v[2:3]
	v_mov_b32_e32 v2, v22
	v_mad_co_u64_u32 v[24:25], null, s8, v28, 0
	v_mad_co_u64_u32 v[26:27], null, s9, v15, v[2:3]
	s_delay_alu instid0(VALU_DEP_4) | instskip(NEXT) | instid1(VALU_DEP_3)
	v_dual_mov_b32 v20, v23 :: v_dual_add_nc_u32 v23, 0x32c, v9
	v_mov_b32_e32 v8, v25
	v_add_co_u32 v2, s0, s10, v4
	s_wait_alu 0xf1ff
	v_add_co_ci_u32_e64 v18, s0, s11, v5, s0
	v_mov_b32_e32 v22, v26
	v_mad_co_u64_u32 v[26:27], null, s8, v13, 0
	v_mad_co_u64_u32 v[28:29], null, s9, v28, v[8:9]
	v_lshlrev_b64_e32 v[19:20], 2, v[19:20]
	v_add_co_u32 v0, s0, v2, v0
	v_lshlrev_b64_e32 v[21:22], 2, v[21:22]
	v_mov_b32_e32 v8, v27
	s_wait_alu 0xf1ff
	v_add_co_ci_u32_e64 v1, s0, v18, v1, s0
	v_mov_b32_e32 v25, v28
	v_mad_co_u64_u32 v[28:29], null, s8, v23, 0
	v_mad_co_u64_u32 v[30:31], null, s9, v13, v[8:9]
	v_add_co_u32 v19, s0, v2, v19
	v_mad_co_u64_u32 v[31:32], null, s8, v11, 0
	s_wait_alu 0xf1ff
	v_add_co_ci_u32_e64 v20, s0, v18, v20, s0
	v_add_co_u32 v33, s0, v2, v21
	v_dual_mov_b32 v8, v29 :: v_dual_mov_b32 v27, v30
	v_add_nc_u32_e32 v30, 0x364, v9
	s_wait_alu 0xf1ff
	v_add_co_ci_u32_e64 v34, s0, v18, v22, s0
	v_lshlrev_b64_e32 v[21:22], 2, v[24:25]
	v_mad_co_u64_u32 v[23:24], null, s9, v23, v[8:9]
	v_mov_b32_e32 v8, v32
	v_mad_co_u64_u32 v[24:25], null, s8, v30, 0
	s_delay_alu instid0(VALU_DEP_4)
	v_add_co_u32 v35, s0, v2, v21
	s_wait_alu 0xf1ff
	v_add_co_ci_u32_e64 v36, s0, v18, v22, s0
	v_lshlrev_b64_e32 v[21:22], 2, v[26:27]
	v_mad_co_u64_u32 v[26:27], null, s9, v11, v[8:9]
	v_dual_mov_b32 v29, v23 :: v_dual_mov_b32 v8, v25
	s_delay_alu instid0(VALU_DEP_3) | instskip(SKIP_1) | instid1(VALU_DEP_4)
	v_add_co_u32 v37, s0, v2, v21
	s_wait_alu 0xf1ff
	v_add_co_ci_u32_e64 v38, s0, v18, v22, s0
	s_delay_alu instid0(VALU_DEP_3) | instskip(SKIP_3) | instid1(VALU_DEP_4)
	v_lshlrev_b64_e32 v[21:22], 2, v[28:29]
	v_mov_b32_e32 v32, v26
	v_mad_co_u64_u32 v[25:26], null, s9, v30, v[8:9]
	v_mad_co_u64_u32 v[26:27], null, s8, v6, 0
	v_add_co_u32 v28, s0, v2, v21
	s_wait_alu 0xf1ff
	v_add_co_ci_u32_e64 v29, s0, v18, v22, s0
	v_lshlrev_b64_e32 v[21:22], 2, v[31:32]
	v_mad_co_u64_u32 v[30:31], null, s8, v42, 0
	v_mov_b32_e32 v8, v27
	v_lshlrev_b64_e32 v[23:24], 2, v[24:25]
	s_delay_alu instid0(VALU_DEP_2)
	v_mad_co_u64_u32 v[39:40], null, s9, v6, v[8:9]
	v_add_co_u32 v40, s0, v2, v21
	v_mov_b32_e32 v8, v31
	s_wait_alu 0xf1ff
	v_add_co_ci_u32_e64 v41, s0, v18, v22, s0
	v_add_co_u32 v31, s0, v2, v23
	s_wait_alu 0xf1ff
	v_add_co_ci_u32_e64 v32, s0, v18, v24, s0
	v_mad_co_u64_u32 v[42:43], null, s9, v42, v[8:9]
	s_clause 0x7
	global_load_b32 v0, v[0:1], off
	global_load_b32 v21, v[19:20], off
	;; [unrolled: 1-line block ×8, first 2 shown]
	v_mad_co_u64_u32 v[43:44], null, s8, v17, 0
	v_mov_b32_e32 v27, v39
	v_add_nc_u32_e32 v39, 0x3d4, v9
	v_mad_co_u64_u32 v[32:33], null, s8, v14, 0
	v_dual_mov_b32 v31, v42 :: v_dual_add_nc_u32 v40, 0x40c, v9
	v_mov_b32_e32 v19, v44
	s_delay_alu instid0(VALU_DEP_4) | instskip(NEXT) | instid1(VALU_DEP_3)
	v_mad_co_u64_u32 v[28:29], null, s8, v39, 0
	v_mad_co_u64_u32 v[36:37], null, s8, v40, 0
	s_delay_alu instid0(VALU_DEP_3) | instskip(SKIP_3) | instid1(VALU_DEP_4)
	v_mad_co_u64_u32 v[19:20], null, s9, v17, v[19:20]
	v_lshlrev_b64_e32 v[26:27], 2, v[26:27]
	v_lshlrev_b64_e32 v[30:31], 2, v[30:31]
	v_mov_b32_e32 v20, v29
	v_mov_b32_e32 v44, v19
	s_delay_alu instid0(VALU_DEP_4) | instskip(SKIP_2) | instid1(VALU_DEP_3)
	v_add_co_u32 v26, s0, v2, v26
	s_wait_alu 0xf1ff
	v_add_co_ci_u32_e64 v27, s0, v18, v27, s0
	v_lshlrev_b64_e32 v[34:35], 2, v[43:44]
	v_add_co_u32 v30, s0, v2, v30
	s_wait_alu 0xf1ff
	v_add_co_ci_u32_e64 v31, s0, v18, v31, s0
	s_delay_alu instid0(VALU_DEP_3)
	v_add_co_u32 v34, s0, v2, v34
	s_wait_alu 0xf1ff
	v_add_co_ci_u32_e64 v35, s0, v18, v35, s0
	s_wait_loadcnt 0x6
	v_mad_co_u64_u32 v[19:20], null, s9, v39, v[20:21]
	v_mov_b32_e32 v20, v33
	v_mad_co_u64_u32 v[38:39], null, s8, v12, 0
	s_delay_alu instid0(VALU_DEP_3) | instskip(NEXT) | instid1(VALU_DEP_3)
	v_mov_b32_e32 v29, v19
	v_mad_co_u64_u32 v[19:20], null, s9, v14, v[20:21]
	v_mov_b32_e32 v20, v37
	s_delay_alu instid0(VALU_DEP_3) | instskip(NEXT) | instid1(VALU_DEP_3)
	v_lshlrev_b64_e32 v[28:29], 2, v[28:29]
	v_mov_b32_e32 v33, v19
	s_delay_alu instid0(VALU_DEP_3)
	v_mad_co_u64_u32 v[19:20], null, s9, v40, v[20:21]
	v_mad_co_u64_u32 v[40:41], null, s8, v46, 0
	v_mov_b32_e32 v20, v39
	v_add_co_u32 v42, s0, v2, v28
	s_wait_alu 0xf1ff
	v_add_co_ci_u32_e64 v43, s0, v18, v29, s0
	v_lshlrev_b64_e32 v[28:29], 2, v[32:33]
	v_mad_co_u64_u32 v[32:33], null, s9, v12, v[20:21]
	v_mov_b32_e32 v37, v19
	v_mov_b32_e32 v19, v41
	s_delay_alu instid0(VALU_DEP_4) | instskip(SKIP_2) | instid1(VALU_DEP_3)
	v_add_co_u32 v44, s0, v2, v28
	s_wait_alu 0xf1ff
	v_add_co_ci_u32_e64 v45, s0, v18, v29, s0
	v_mad_co_u64_u32 v[19:20], null, s9, v46, v[19:20]
	v_lshlrev_b64_e32 v[28:29], 2, v[36:37]
	v_mad_co_u64_u32 v[36:37], null, s8, v10, 0
	v_mov_b32_e32 v39, v32
	s_delay_alu instid0(VALU_DEP_4) | instskip(NEXT) | instid1(VALU_DEP_4)
	v_mov_b32_e32 v41, v19
	v_add_co_u32 v46, s0, v2, v28
	s_delay_alu instid0(VALU_DEP_3)
	v_lshlrev_b64_e32 v[19:20], 2, v[38:39]
	v_mad_co_u64_u32 v[38:39], null, s8, v50, 0
	v_mov_b32_e32 v28, v37
	v_lshlrev_b64_e32 v[32:33], 2, v[40:41]
	s_wait_alu 0xf1ff
	v_add_co_ci_u32_e64 v47, s0, v18, v29, s0
	v_add_co_u32 v19, s0, v2, v19
	v_mad_co_u64_u32 v[28:29], null, s9, v10, v[28:29]
	v_mov_b32_e32 v29, v39
	s_wait_alu 0xf1ff
	v_add_co_ci_u32_e64 v20, s0, v18, v20, s0
	v_add_co_u32 v48, s0, v2, v32
	s_wait_alu 0xf1ff
	v_add_co_ci_u32_e64 v49, s0, v18, v33, s0
	v_mad_co_u64_u32 v[32:33], null, s9, v50, v[29:30]
	v_mov_b32_e32 v37, v28
	s_clause 0x7
	global_load_b32 v28, v[26:27], off
	global_load_b32 v31, v[30:31], off
	;; [unrolled: 1-line block ×8, first 2 shown]
	v_mad_co_u64_u32 v[50:51], null, s8, v3, 0
	v_add_nc_u32_e32 v43, 0x4b4, v9
	v_lshlrev_b64_e32 v[19:20], 2, v[36:37]
	v_mad_co_u64_u32 v[36:37], null, s8, v16, 0
	v_mov_b32_e32 v39, v32
	s_delay_alu instid0(VALU_DEP_4) | instskip(SKIP_4) | instid1(VALU_DEP_4)
	v_mad_co_u64_u32 v[34:35], null, s8, v43, 0
	v_mov_b32_e32 v26, v51
	v_add_nc_u32_e32 v32, 0x4ec, v9
	v_mad_co_u64_u32 v[47:48], null, s8, v7, 0
	v_lshlrev_b64_e32 v[38:39], 2, v[38:39]
	v_mad_co_u64_u32 v[26:27], null, s9, v3, v[26:27]
	v_mov_b32_e32 v27, v35
	v_add_co_u32 v19, s0, v2, v19
	s_wait_alu 0xf1ff
	v_add_co_ci_u32_e64 v20, s0, v18, v20, s0
	v_add_co_u32 v38, s0, v2, v38
	v_mov_b32_e32 v51, v26
	s_wait_alu 0xf1ff
	v_add_co_ci_u32_e64 v39, s0, v18, v39, s0
	s_delay_alu instid0(VALU_DEP_2) | instskip(NEXT) | instid1(VALU_DEP_1)
	v_lshlrev_b64_e32 v[45:46], 2, v[50:51]
	v_add_co_u32 v45, s0, v2, v45
	s_wait_alu 0xf1ff
	s_delay_alu instid0(VALU_DEP_2) | instskip(SKIP_4) | instid1(VALU_DEP_3)
	v_add_co_ci_u32_e64 v46, s0, v18, v46, s0
	s_wait_loadcnt 0x7
	v_mad_co_u64_u32 v[26:27], null, s9, v43, v[27:28]
	v_mad_co_u64_u32 v[43:44], null, s8, v32, 0
	v_mov_b32_e32 v27, v37
	v_mov_b32_e32 v35, v26
	s_delay_alu instid0(VALU_DEP_2) | instskip(NEXT) | instid1(VALU_DEP_4)
	v_mad_co_u64_u32 v[26:27], null, s9, v16, v[27:28]
	v_mov_b32_e32 v27, v44
	s_delay_alu instid0(VALU_DEP_3) | instskip(NEXT) | instid1(VALU_DEP_2)
	v_lshlrev_b64_e32 v[34:35], 2, v[34:35]
	v_mad_co_u64_u32 v[49:50], null, s9, v32, v[27:28]
	v_mad_co_u64_u32 v[50:51], null, s8, v52, 0
	v_mov_b32_e32 v27, v48
	v_mov_b32_e32 v37, v26
	v_add_co_u32 v34, s0, v2, v34
	v_mov_b32_e32 v44, v49
	s_delay_alu instid0(VALU_DEP_4)
	v_mad_co_u64_u32 v[26:27], null, s9, v7, v[27:28]
	v_mov_b32_e32 v27, v51
	v_lshlrev_b64_e32 v[36:37], 2, v[36:37]
	s_wait_alu 0xf1ff
	v_add_co_ci_u32_e64 v35, s0, v18, v35, s0
	v_lshlrev_b64_e32 v[43:44], 2, v[43:44]
	v_mad_co_u64_u32 v[51:52], null, s9, v52, v[27:28]
	v_mov_b32_e32 v48, v26
	v_add_co_u32 v26, s0, v2, v36
	s_wait_alu 0xf1ff
	v_add_co_ci_u32_e64 v27, s0, v18, v37, s0
	s_delay_alu instid0(VALU_DEP_3) | instskip(SKIP_4) | instid1(VALU_DEP_4)
	v_lshlrev_b64_e32 v[36:37], 2, v[47:48]
	v_add_co_u32 v43, s0, v2, v43
	v_lshlrev_b64_e32 v[47:48], 2, v[50:51]
	s_wait_alu 0xf1ff
	v_add_co_ci_u32_e64 v44, s0, v18, v44, s0
	v_add_co_u32 v36, s0, v2, v36
	s_wait_alu 0xf1ff
	v_add_co_ci_u32_e64 v37, s0, v18, v37, s0
	v_add_co_u32 v47, s0, v2, v47
	s_wait_alu 0xf1ff
	v_add_co_ci_u32_e64 v48, s0, v18, v48, s0
	s_clause 0x7
	global_load_b32 v49, v[19:20], off
	global_load_b32 v60, v[38:39], off
	;; [unrolled: 1-line block ×8, first 2 shown]
	v_mov_b32_e32 v50, 0
	v_mov_b32_e32 v26, 0
                                        ; implicit-def: $vgpr32
	v_cmpx_gt_u32_e32 28, v9
	s_cbranch_execz .LBB0_14
; %bb.13:
	v_or_b32_e32 v32, 0x2a0, v9
	v_add_nc_u32_e32 v36, 0x55c, v9
	s_delay_alu instid0(VALU_DEP_2) | instskip(NEXT) | instid1(VALU_DEP_2)
	v_mad_co_u64_u32 v[19:20], null, s8, v32, 0
	v_mad_co_u64_u32 v[26:27], null, s8, v36, 0
	s_delay_alu instid0(VALU_DEP_2) | instskip(NEXT) | instid1(VALU_DEP_2)
	v_mad_co_u64_u32 v[34:35], null, s9, v32, v[20:21]
	v_mad_co_u64_u32 v[35:36], null, s9, v36, v[27:28]
	s_delay_alu instid0(VALU_DEP_1) | instskip(NEXT) | instid1(VALU_DEP_1)
	v_dual_mov_b32 v20, v34 :: v_dual_mov_b32 v27, v35
	v_lshlrev_b64_e32 v[19:20], 2, v[19:20]
	s_delay_alu instid0(VALU_DEP_2) | instskip(NEXT) | instid1(VALU_DEP_2)
	v_lshlrev_b64_e32 v[26:27], 2, v[26:27]
	v_add_co_u32 v19, s0, v2, v19
	s_wait_alu 0xf1ff
	s_delay_alu instid0(VALU_DEP_3) | instskip(NEXT) | instid1(VALU_DEP_3)
	v_add_co_ci_u32_e64 v20, s0, v18, v20, s0
	v_add_co_u32 v26, s0, v2, v26
	s_wait_alu 0xf1ff
	v_add_co_ci_u32_e64 v27, s0, v18, v27, s0
	s_clause 0x1
	global_load_b32 v50, v[19:20], off
	global_load_b32 v68, v[26:27], off
	s_wait_loadcnt 0x1
	v_lshrrev_b32_e32 v26, 16, v50
	s_wait_loadcnt 0x0
	v_lshrrev_b32_e32 v32, 16, v68
.LBB0_14:
	s_wait_alu 0xfffe
	s_or_b32 exec_lo, exec_lo, s2
	v_lshrrev_b32_e32 v27, 16, v0
	v_lshrrev_b32_e32 v35, 16, v21
	;; [unrolled: 1-line block ×9, first 2 shown]
	s_wait_loadcnt 0xe
	v_lshrrev_b32_e32 v56, 16, v31
	s_wait_loadcnt 0xd
	v_lshrrev_b32_e32 v55, 16, v29
	s_wait_loadcnt 0xc
	v_lshrrev_b32_e32 v58, 16, v33
	s_wait_loadcnt 0xb
	v_lshrrev_b32_e32 v57, 16, v30
	s_wait_loadcnt 0xa
	v_lshrrev_b32_e32 v64, 16, v41
	s_wait_loadcnt 0x9
	v_lshrrev_b32_e32 v59, 16, v40
	s_wait_loadcnt 0x8
	v_lshrrev_b32_e32 v72, 16, v42
	s_wait_loadcnt 0x7
	v_lshrrev_b32_e32 v63, 16, v49
	s_wait_loadcnt 0x6
	v_lshrrev_b32_e32 v73, 16, v60
	s_wait_loadcnt 0x5
	v_lshrrev_b32_e32 v65, 16, v51
	s_wait_loadcnt 0x4
	v_lshrrev_b32_e32 v75, 16, v62
	s_wait_loadcnt 0x3
	v_lshrrev_b32_e32 v74, 16, v52
	s_wait_loadcnt 0x2
	v_lshrrev_b32_e32 v79, 16, v66
	s_wait_loadcnt 0x1
	v_lshrrev_b32_e32 v78, 16, v61
	s_wait_loadcnt 0x0
	v_lshrrev_b32_e32 v80, 16, v67
	v_dual_mov_b32 v43, v7 :: v_dual_mov_b32 v44, v16
	v_dual_mov_b32 v45, v10 :: v_dual_mov_b32 v46, v12
	;; [unrolled: 1-line block ×4, first 2 shown]
	v_mov_b32_e32 v20, v11
	v_mov_b32_e32 v18, v15
.LBB0_15:
	s_or_b32 exec_lo, exec_lo, s1
	v_sub_f16_e32 v21, v0, v21
	v_sub_f16_e32 v23, v1, v23
	;; [unrolled: 1-line block ×5, first 2 shown]
	v_fma_f16 v0, v0, 2.0, -v21
	v_sub_f16_e32 v69, v29, v33
	v_sub_f16_e32 v41, v30, v41
	v_fma_f16 v1, v1, 2.0, -v23
	v_fma_f16 v22, v22, 2.0, -v24
	;; [unrolled: 1-line block ×4, first 2 shown]
	v_sub_f16_e32 v42, v40, v42
	v_fma_f16 v29, v29, 2.0, -v69
	v_fma_f16 v30, v30, 2.0, -v41
	v_lshl_add_u32 v92, v9, 2, 0
	v_pack_b32_f16 v0, v0, v21
	v_lshl_add_u32 v93, v18, 2, 0
	v_pack_b32_f16 v1, v1, v23
	;; [unrolled: 2-line block ×5, first 2 shown]
	v_fma_f16 v40, v40, 2.0, -v42
	v_sub_f16_e32 v60, v49, v60
	ds_store_b32 v92, v0
	ds_store_b32 v93, v1
	;; [unrolled: 1-line block ×5, first 2 shown]
	v_lshl_add_u32 v83, v48, 2, 0
	v_pack_b32_f16 v1, v29, v69
	v_lshl_add_u32 v85, v47, 2, 0
	v_pack_b32_f16 v8, v30, v41
	v_sub_f16_e32 v62, v51, v62
	v_sub_f16_e32 v66, v52, v66
	;; [unrolled: 1-line block ×4, first 2 shown]
	v_fma_f16 v68, v49, 2.0, -v60
	v_lshl_add_u32 v81, v46, 2, 0
	v_pack_b32_f16 v21, v40, v42
	ds_store_b32 v83, v1
	ds_store_b32 v85, v8
	v_add_nc_u32_e32 v8, 0x2a0, v9
	v_fma_f16 v51, v51, 2.0, -v62
	v_fma_f16 v52, v52, 2.0, -v66
	;; [unrolled: 1-line block ×4, first 2 shown]
	v_lshlrev_b32_e32 v0, 1, v48
	v_lshlrev_b32_e32 v30, 1, v47
	;; [unrolled: 1-line block ×3, first 2 shown]
	ds_store_b32 v81, v21
	v_lshlrev_b32_e32 v1, 1, v45
	v_lshl_add_u32 v84, v45, 2, 0
	v_pack_b32_f16 v21, v68, v60
	v_lshlrev_b32_e32 v28, 1, v3
	v_lshl_add_u32 v86, v3, 2, 0
	v_lshlrev_b32_e32 v3, 1, v44
	v_lshl_add_u32 v87, v44, 2, 0
	;; [unrolled: 2-line block ×3, first 2 shown]
	v_cmp_gt_u32_e64 s0, 28, v9
	v_lshl_add_u32 v94, v8, 2, 0
	v_pack_b32_f16 v22, v51, v62
	v_pack_b32_f16 v23, v52, v66
	v_pack_b32_f16 v24, v61, v67
	ds_store_b32 v84, v21
	ds_store_b32 v86, v22
	;; [unrolled: 1-line block ×4, first 2 shown]
	s_and_saveexec_b32 s1, s0
	s_cbranch_execz .LBB0_17
; %bb.16:
	v_perm_b32 v21, v33, v49, 0x5040100
	ds_store_b32 v94, v21
.LBB0_17:
	s_wait_alu 0xfffe
	s_or_b32 exec_lo, exec_lo, s1
	v_lshl_add_u32 v22, v19, 1, 0
	v_lshl_add_u32 v21, v9, 1, 0
	;; [unrolled: 1-line block ×4, first 2 shown]
	v_sub_nc_u32_e32 v45, v83, v0
	v_sub_nc_u32_e32 v68, v85, v30
	v_sub_nc_u32_e32 v69, v81, v29
	v_sub_nc_u32_e32 v70, v84, v1
	v_sub_nc_u32_e32 v71, v86, v28
	v_sub_nc_u32_e32 v76, v87, v3
	v_sub_nc_u32_e32 v77, v88, v31
	global_wb scope:SCOPE_SE
	s_wait_dscnt 0x0
	s_barrier_signal -1
	s_barrier_wait -1
	global_inv scope:SCOPE_SE
	v_lshl_add_u32 v24, v18, 1, 0
	ds_load_u16 v60, v22
	ds_load_u16 v61, v23
	;; [unrolled: 1-line block ×3, first 2 shown]
	ds_load_u16 v52, v21 offset:1400
	ds_load_u16 v51, v21 offset:1512
	;; [unrolled: 1-line block ×11, first 2 shown]
	ds_load_u16 v66, v25
	ds_load_u16 v67, v45
	;; [unrolled: 1-line block ×9, first 2 shown]
	ds_load_u16 v45, v21 offset:2632
	s_and_saveexec_b32 s1, s0
	s_cbranch_execz .LBB0_19
; %bb.18:
	ds_load_u16 v49, v21 offset:1344
	ds_load_u16 v33, v21 offset:2744
.LBB0_19:
	s_wait_alu 0xfffe
	s_or_b32 exec_lo, exec_lo, s1
	v_sub_f16_e32 v100, v27, v35
	v_sub_f16_e32 v72, v59, v72
	;; [unrolled: 1-line block ×5, first 2 shown]
	v_fma_f16 v27, v27, 2.0, -v100
	v_fma_f16 v103, v59, 2.0, -v72
	v_sub_f16_e32 v59, v26, v32
	v_fma_f16 v34, v34, 2.0, -v101
	v_sub_f16_e32 v56, v39, v56
	v_sub_f16_e32 v58, v55, v58
	;; [unrolled: 1-line block ×3, first 2 shown]
	v_fma_f16 v37, v37, 2.0, -v53
	v_fma_f16 v54, v26, 2.0, -v59
	v_pack_b32_f16 v26, v27, v100
	v_fma_f16 v36, v36, 2.0, -v102
	v_sub_f16_e32 v73, v63, v73
	v_pack_b32_f16 v27, v34, v101
	v_fma_f16 v39, v39, 2.0, -v56
	v_sub_f16_e32 v75, v65, v75
	v_fma_f16 v55, v55, 2.0, -v58
	v_sub_f16_e32 v79, v74, v79
	;; [unrolled: 2-line block ×3, first 2 shown]
	global_wb scope:SCOPE_SE
	s_wait_dscnt 0x0
	s_barrier_signal -1
	s_barrier_wait -1
	global_inv scope:SCOPE_SE
	ds_store_b32 v92, v26
	ds_store_b32 v93, v27
	v_pack_b32_f16 v26, v37, v53
	v_fma_f16 v32, v63, 2.0, -v73
	v_pack_b32_f16 v27, v36, v102
	v_fma_f16 v63, v65, 2.0, -v75
	;; [unrolled: 2-line block ×4, first 2 shown]
	v_pack_b32_f16 v37, v57, v64
	v_sub_nc_u32_e32 v99, 0, v0
	v_sub_nc_u32_e32 v95, 0, v30
	;; [unrolled: 1-line block ×7, first 2 shown]
	ds_store_b32 v89, v26
	ds_store_b32 v90, v27
	;; [unrolled: 1-line block ×5, first 2 shown]
	v_pack_b32_f16 v26, v103, v72
	v_pack_b32_f16 v27, v32, v73
	;; [unrolled: 1-line block ×5, first 2 shown]
	ds_store_b32 v81, v26
	ds_store_b32 v84, v27
	;; [unrolled: 1-line block ×5, first 2 shown]
	s_and_saveexec_b32 s1, s0
	s_cbranch_execz .LBB0_21
; %bb.20:
	v_perm_b32 v26, v59, v54, 0x5040100
	ds_store_b32 v94, v26
.LBB0_21:
	s_wait_alu 0xfffe
	s_or_b32 exec_lo, exec_lo, s1
	v_add_nc_u32_e32 v26, v83, v99
	v_add_nc_u32_e32 v53, v85, v95
	;; [unrolled: 1-line block ×4, first 2 shown]
	global_wb scope:SCOPE_SE
	s_wait_dscnt 0x0
	s_barrier_signal -1
	s_barrier_wait -1
	global_inv scope:SCOPE_SE
	ds_load_u16 v73, v22
	ds_load_u16 v72, v23
	;; [unrolled: 1-line block ×3, first 2 shown]
	ds_load_u16 v108, v21 offset:1400
	ds_load_u16 v104, v21 offset:1512
	;; [unrolled: 1-line block ×7, first 2 shown]
	v_add_nc_u32_e32 v57, v86, v96
	v_add_nc_u32_e32 v27, v87, v38
	ds_load_u16 v99, v21 offset:2184
	ds_load_u16 v100, v21 offset:2296
	;; [unrolled: 1-line block ×4, first 2 shown]
	v_add_nc_u32_e32 v58, v88, v35
	ds_load_u16 v83, v25
	ds_load_u16 v84, v26
	;; [unrolled: 1-line block ×9, first 2 shown]
	ds_load_u16 v98, v21 offset:2632
	v_lshlrev_b32_e32 v38, 1, v9
	v_lshlrev_b32_e32 v37, 1, v18
	v_lshlrev_b32_e32 v36, 1, v19
	v_lshlrev_b32_e32 v35, 1, v20
	v_lshlrev_b32_e32 v34, 1, v2
	s_and_saveexec_b32 s1, s0
	s_cbranch_execz .LBB0_23
; %bb.22:
	ds_load_u16 v54, v21 offset:1344
	ds_load_u16 v59, v21 offset:2744
.LBB0_23:
	s_wait_alu 0xfffe
	s_or_b32 exec_lo, exec_lo, s1
	v_and_b32_e32 v74, 1, v9
	s_delay_alu instid0(VALU_DEP_1)
	v_lshlrev_b32_e32 v32, 2, v74
	v_and_or_b32 v39, 0x7c, v38, v74
	v_and_or_b32 v63, 0xfc, v37, v74
	;; [unrolled: 1-line block ×4, first 2 shown]
	global_load_b32 v109, v32, s[4:5]
	v_and_or_b32 v87, 0x3fc, v34, v74
	v_and_or_b32 v88, 0x2fc, v0, v74
	;; [unrolled: 1-line block ×8, first 2 shown]
	v_lshl_add_u32 v121, v39, 1, 0
	v_lshl_add_u32 v120, v63, 1, 0
	;; [unrolled: 1-line block ×12, first 2 shown]
	v_lshlrev_b32_e32 v32, 1, v8
	global_wb scope:SCOPE_SE
	s_wait_loadcnt_dscnt 0x0
	s_barrier_signal -1
	s_barrier_wait -1
	global_inv scope:SCOPE_SE
	v_lshrrev_b32_e32 v122, 16, v109
	s_delay_alu instid0(VALU_DEP_1)
	v_mul_f16_e32 v39, v108, v122
	v_mul_f16_e32 v97, v59, v122
	;; [unrolled: 1-line block ×13, first 2 shown]
	v_fma_f16 v39, v52, v109, -v39
	v_fma_f16 v97, v33, v109, -v97
	;; [unrolled: 1-line block ×13, first 2 shown]
	v_sub_f16_e32 v123, v62, v39
	v_sub_f16_e32 v39, v49, v97
	;; [unrolled: 1-line block ×13, first 2 shown]
	v_fma_f16 v62, v62, 2.0, -v123
	v_fma_f16 v49, v49, 2.0, -v39
	;; [unrolled: 1-line block ×13, first 2 shown]
	ds_store_b16 v121, v62
	ds_store_b16 v121, v123 offset:4
	ds_store_b16 v120, v82
	ds_store_b16 v120, v63 offset:4
	;; [unrolled: 2-line block ×12, first 2 shown]
	s_and_saveexec_b32 s1, s0
	s_cbranch_execz .LBB0_25
; %bb.24:
	v_and_or_b32 v60, 0x57c, v32, v74
	s_delay_alu instid0(VALU_DEP_1)
	v_lshl_add_u32 v60, v60, 1, 0
	ds_store_b16 v60, v49
	ds_store_b16 v60, v39 offset:4
.LBB0_25:
	s_wait_alu 0xfffe
	s_or_b32 exec_lo, exec_lo, s1
	global_wb scope:SCOPE_SE
	s_wait_dscnt 0x0
	s_barrier_signal -1
	s_barrier_wait -1
	global_inv scope:SCOPE_SE
	ds_load_u16 v76, v22
	ds_load_u16 v77, v23
	ds_load_u16 v82, v21
	ds_load_u16 v71, v21 offset:1400
	ds_load_u16 v70, v21 offset:1512
	;; [unrolled: 1-line block ×11, first 2 shown]
	ds_load_u16 v87, v25
	ds_load_u16 v88, v26
	;; [unrolled: 1-line block ×9, first 2 shown]
	ds_load_u16 v64, v21 offset:2632
	s_and_saveexec_b32 s1, s0
	s_cbranch_execz .LBB0_27
; %bb.26:
	ds_load_u16 v49, v21 offset:1344
	ds_load_u16 v39, v21 offset:2744
.LBB0_27:
	s_wait_alu 0xfffe
	s_or_b32 exec_lo, exec_lo, s1
	v_mul_f16_e32 v52, v52, v122
	v_mul_f16_e32 v33, v33, v122
	;; [unrolled: 1-line block ×6, first 2 shown]
	v_fmac_f16_e32 v52, v108, v109
	v_mul_f16_e32 v43, v43, v122
	v_mul_f16_e32 v40, v40, v122
	;; [unrolled: 1-line block ×7, first 2 shown]
	v_fmac_f16_e32 v33, v59, v109
	v_fmac_f16_e32 v51, v104, v109
	;; [unrolled: 1-line block ×11, first 2 shown]
	v_sub_f16_e32 v52, v75, v52
	v_fmac_f16_e32 v45, v98, v109
	v_sub_f16_e32 v33, v54, v33
	v_sub_f16_e32 v51, v96, v51
	;; [unrolled: 1-line block ×3, first 2 shown]
	v_fma_f16 v75, v75, 2.0, -v52
	v_sub_f16_e32 v48, v72, v48
	v_sub_f16_e32 v46, v83, v46
	;; [unrolled: 1-line block ×9, first 2 shown]
	v_fma_f16 v59, v54, 2.0, -v33
	v_fma_f16 v95, v96, 2.0, -v51
	;; [unrolled: 1-line block ×12, first 2 shown]
	global_wb scope:SCOPE_SE
	s_wait_dscnt 0x0
	s_barrier_signal -1
	s_barrier_wait -1
	global_inv scope:SCOPE_SE
	ds_store_b16 v121, v75
	ds_store_b16 v121, v52 offset:4
	ds_store_b16 v120, v95
	ds_store_b16 v120, v51 offset:4
	;; [unrolled: 2-line block ×12, first 2 shown]
	s_and_saveexec_b32 s1, s0
	s_cbranch_execz .LBB0_29
; %bb.28:
	v_and_or_b32 v40, 0x57c, v32, v74
	s_delay_alu instid0(VALU_DEP_1)
	v_lshl_add_u32 v40, v40, 1, 0
	ds_store_b16 v40, v59
	ds_store_b16 v40, v33 offset:4
.LBB0_29:
	s_wait_alu 0xfffe
	s_or_b32 exec_lo, exec_lo, s1
	global_wb scope:SCOPE_SE
	s_wait_dscnt 0x0
	s_barrier_signal -1
	s_barrier_wait -1
	global_inv scope:SCOPE_SE
	ds_load_u16 v40, v22
	ds_load_u16 v41, v23
	;; [unrolled: 1-line block ×3, first 2 shown]
	ds_load_u16 v78, v21 offset:1400
	ds_load_u16 v79, v21 offset:1512
	;; [unrolled: 1-line block ×11, first 2 shown]
	ds_load_u16 v48, v25
	ds_load_u16 v50, v26
	ds_load_u16 v51, v53
	ds_load_u16 v42, v55
	ds_load_u16 v43, v56
	ds_load_u16 v44, v57
	ds_load_u16 v45, v27
	ds_load_u16 v46, v58
	ds_load_u16 v53, v24
	ds_load_u16 v55, v21 offset:2632
	s_and_saveexec_b32 s1, s0
	s_cbranch_execz .LBB0_31
; %bb.30:
	ds_load_u16 v59, v21 offset:1344
	ds_load_u16 v33, v21 offset:2744
.LBB0_31:
	s_wait_alu 0xfffe
	s_or_b32 exec_lo, exec_lo, s1
	v_and_b32_e32 v58, 3, v9
	s_delay_alu instid0(VALU_DEP_1)
	v_lshlrev_b32_e32 v56, 2, v58
	v_and_or_b32 v0, 0x2f8, v0, v58
	v_and_or_b32 v57, 0x3f8, v1, v58
	;; [unrolled: 1-line block ×4, first 2 shown]
	global_load_b32 v56, v56, s[4:5] offset:8
	v_and_or_b32 v38, 0x78, v38, v58
	v_and_or_b32 v29, 0x3f8, v29, v58
	;; [unrolled: 1-line block ×8, first 2 shown]
	v_lshl_add_u32 v86, v0, 1, 0
	v_lshl_add_u32 v95, v34, 1, 0
	;; [unrolled: 1-line block ×12, first 2 shown]
	global_wb scope:SCOPE_SE
	s_wait_loadcnt_dscnt 0x0
	s_barrier_signal -1
	s_barrier_wait -1
	global_inv scope:SCOPE_SE
	v_lshrrev_b32_e32 v1, 16, v56
	s_delay_alu instid0(VALU_DEP_1)
	v_mul_f16_e32 v0, v78, v1
	v_mul_f16_e32 v3, v79, v1
	;; [unrolled: 1-line block ×13, first 2 shown]
	v_fma_f16 v0, v71, v56, -v0
	v_fma_f16 v3, v70, v56, -v3
	;; [unrolled: 1-line block ×13, first 2 shown]
	v_sub_f16_e32 v106, v82, v0
	v_sub_f16_e32 v3, v97, v3
	;; [unrolled: 1-line block ×13, first 2 shown]
	v_fma_f16 v82, v82, 2.0, -v106
	v_fma_f16 v97, v97, 2.0, -v3
	;; [unrolled: 1-line block ×12, first 2 shown]
	ds_store_b16 v100, v82
	ds_store_b16 v100, v106 offset:8
	ds_store_b16 v99, v97
	ds_store_b16 v99, v3 offset:8
	;; [unrolled: 2-line block ×12, first 2 shown]
	s_and_saveexec_b32 s1, s0
	s_cbranch_execz .LBB0_33
; %bb.32:
	v_and_or_b32 v3, 0x578, v32, v58
	v_fma_f16 v29, v49, 2.0, -v0
	s_delay_alu instid0(VALU_DEP_2)
	v_lshl_add_u32 v3, v3, 1, 0
	ds_store_b16 v3, v29
	ds_store_b16 v3, v0 offset:8
.LBB0_33:
	s_wait_alu 0xfffe
	s_or_b32 exec_lo, exec_lo, s1
	v_mul_f16_e32 v37, v66, v1
	v_mul_f16_e32 v3, v71, v1
	v_mul_f16_e32 v29, v70, v1
	v_mul_f16_e32 v30, v69, v1
	v_mul_f16_e32 v31, v68, v1
	v_mul_f16_e32 v35, v67, v1
	v_mul_f16_e32 v49, v65, v1
	v_mul_f16_e32 v57, v63, v1
	v_mul_f16_e32 v62, v62, v1
	v_mul_f16_e32 v61, v61, v1
	v_fmac_f16_e32 v37, v54, v56
	v_mul_f16_e32 v54, v60, v1
	v_mul_f16_e32 v60, v64, v1
	v_fmac_f16_e32 v3, v78, v56
	v_fmac_f16_e32 v29, v79, v56
	;; [unrolled: 1-line block ×11, first 2 shown]
	v_mul_f16_e32 v1, v39, v1
	v_sub_f16_e32 v39, v47, v3
	v_sub_f16_e32 v63, v53, v29
	;; [unrolled: 1-line block ×12, first 2 shown]
	v_fmac_f16_e32 v1, v33, v56
	v_fma_f16 v64, v47, 2.0, -v39
	v_fma_f16 v65, v53, 2.0, -v63
	;; [unrolled: 1-line block ×12, first 2 shown]
	global_wb scope:SCOPE_SE
	s_wait_dscnt 0x0
	s_barrier_signal -1
	s_barrier_wait -1
	global_inv scope:SCOPE_SE
	ds_load_u16 v46, v27
	ds_load_u16 v29, v21 offset:2352
	ds_load_u16 v30, v22
	ds_load_u16 v33, v23
	;; [unrolled: 1-line block ×3, first 2 shown]
	ds_load_u16 v52, v21 offset:672
	ds_load_u16 v48, v21 offset:784
	;; [unrolled: 1-line block ×10, first 2 shown]
	ds_load_u16 v56, v26
	ds_load_u16 v3, v25
	ds_load_u16 v54, v21 offset:1232
	ds_load_u16 v44, v21 offset:1008
	;; [unrolled: 1-line block ×6, first 2 shown]
	ds_load_u16 v37, v24
	ds_load_u16 v45, v21 offset:2688
	v_sub_f16_e32 v1, v59, v1
	global_wb scope:SCOPE_SE
	s_wait_dscnt 0x0
	s_barrier_signal -1
	s_barrier_wait -1
	global_inv scope:SCOPE_SE
	ds_store_b16 v100, v64
	ds_store_b16 v100, v39 offset:8
	ds_store_b16 v99, v65
	ds_store_b16 v99, v63 offset:8
	;; [unrolled: 2-line block ×12, first 2 shown]
	s_and_saveexec_b32 s1, s0
	s_cbranch_execz .LBB0_35
; %bb.34:
	v_and_or_b32 v28, 0x578, v32, v58
	v_fma_f16 v32, v59, 2.0, -v1
	s_delay_alu instid0(VALU_DEP_2)
	v_lshl_add_u32 v28, v28, 1, 0
	ds_store_b16 v28, v32
	ds_store_b16 v28, v1 offset:8
.LBB0_35:
	s_wait_alu 0xfffe
	s_or_b32 exec_lo, exec_lo, s1
	v_and_b32_e32 v32, 7, v9
	global_wb scope:SCOPE_SE
	s_wait_dscnt 0x0
	s_barrier_signal -1
	s_barrier_wait -1
	global_inv scope:SCOPE_SE
	v_lshlrev_b32_e32 v28, 4, v32
	v_lshrrev_b32_e32 v61, 3, v18
	v_lshrrev_b32_e32 v62, 3, v19
	;; [unrolled: 1-line block ×4, first 2 shown]
	global_load_b128 v[105:108], v28, s[4:5] offset:24
	v_lshrrev_b32_e32 v60, 3, v9
	v_mul_lo_u32 v61, v61, 40
	v_mul_lo_u32 v62, v62, 40
	;; [unrolled: 1-line block ×4, first 2 shown]
	ds_load_u16 v58, v27
	ds_load_u16 v59, v21 offset:2352
	ds_load_u16 v36, v22
	ds_load_u16 v34, v23
	;; [unrolled: 1-line block ×3, first 2 shown]
	ds_load_u16 v73, v21 offset:672
	ds_load_u16 v74, v21 offset:784
	;; [unrolled: 1-line block ×10, first 2 shown]
	ds_load_u16 v89, v26
	ds_load_u16 v28, v25
	ds_load_u16 v90, v21 offset:1232
	ds_load_u16 v111, v21 offset:1008
	;; [unrolled: 1-line block ×6, first 2 shown]
	ds_load_u16 v39, v24
	ds_load_u16 v114, v21 offset:2688
	v_mul_u32_u24_e32 v60, 40, v60
	global_wb scope:SCOPE_SE
	s_wait_loadcnt_dscnt 0x0
	s_barrier_signal -1
	v_or_b32_e32 v61, v61, v32
	v_or_b32_e32 v62, v62, v32
	;; [unrolled: 1-line block ×5, first 2 shown]
	v_lshl_add_u32 v65, v61, 1, 0
	v_lshl_add_u32 v64, v62, 1, 0
	v_lshl_add_u32 v66, v60, 1, 0
	s_barrier_wait -1
	v_lshl_add_u32 v62, v32, 1, 0
	global_inv scope:SCOPE_SE
	v_lshl_add_u32 v63, v63, 1, 0
	v_cmp_gt_u32_e64 s0, 32, v9
	v_lshrrev_b32_e32 v32, 16, v106
	v_lshrrev_b32_e32 v70, 16, v107
	;; [unrolled: 1-line block ×4, first 2 shown]
	s_delay_alu instid0(VALU_DEP_4) | instskip(NEXT) | instid1(VALU_DEP_4)
	v_mul_f16_e32 v99, v58, v32
	v_mul_f16_e32 v100, v92, v70
	s_delay_alu instid0(VALU_DEP_4) | instskip(NEXT) | instid1(VALU_DEP_4)
	v_mul_f16_e32 v98, v89, v67
	v_mul_f16_e32 v104, v91, v97
	v_mul_f16_e32 v115, v73, v67
	v_mul_f16_e32 v116, v90, v32
	v_mul_f16_e32 v117, v81, v70
	v_mul_f16_e32 v87, v53, v70
	v_mul_f16_e32 v118, v59, v97
	v_mul_f16_e32 v79, v50, v70
	v_mul_f16_e32 v123, v75, v67
	v_mul_f16_e32 v124, v82, v32
	v_mul_f16_e32 v61, v40, v32
	v_mul_f16_e32 v125, v84, v70
	v_mul_f16_e32 v71, v41, v70
	v_mul_f16_e32 v126, v110, v97
	v_mul_f16_e32 v95, v56, v67
	v_mul_f16_e32 v96, v46, v32
	v_mul_f16_e32 v94, v57, v70
	v_mul_f16_e32 v93, v55, v97
	v_mul_f16_e32 v85, v52, v67
	v_mul_f16_e32 v86, v54, v32
	v_mul_f16_e32 v119, v74, v67
	v_mul_f16_e32 v77, v48, v67
	v_mul_f16_e32 v120, v76, v32
	v_mul_f16_e32 v78, v49, v32
	v_mul_f16_e32 v121, v83, v70
	v_mul_f16_e32 v122, v109, v97
	v_mul_f16_e32 v60, v31, v67
	v_mul_f16_e32 v127, v111, v67
	v_mul_f16_e64 v128, v113, v32
	v_mul_f16_e32 v69, v47, v32
	v_mul_f16_e32 v32, v112, v70
	v_mul_f16_e64 v129, v114, v97
	v_fma_f16 v102, v46, v106, -v99
	v_fma_f16 v103, v57, v107, -v100
	v_fma_f16 v101, v56, v105, -v98
	v_fma_f16 v104, v55, v108, -v104
	v_mul_f16_e32 v88, v29, v97
	v_mul_f16_e32 v80, v51, v97
	;; [unrolled: 1-line block ×5, first 2 shown]
	v_fma_f16 v99, v52, v105, -v115
	v_fma_f16 v97, v54, v106, -v116
	;; [unrolled: 1-line block ×3, first 2 shown]
	v_fmac_f16_e32 v87, v81, v107
	v_fma_f16 v100, v29, v108, -v118
	v_fmac_f16_e32 v79, v83, v107
	v_fma_f16 v83, v31, v105, -v123
	v_fma_f16 v81, v40, v106, -v124
	v_fmac_f16_e32 v61, v82, v106
	v_fma_f16 v82, v41, v107, -v125
	v_fmac_f16_e32 v71, v84, v107
	v_fma_f16 v84, v42, v108, -v126
	v_mul_f16_e32 v70, v43, v70
	v_fmac_f16_e32 v95, v89, v105
	v_fmac_f16_e32 v94, v92, v107
	;; [unrolled: 1-line block ×5, first 2 shown]
	v_fma_f16 v91, v48, v105, -v119
	v_fmac_f16_e32 v77, v74, v105
	v_fma_f16 v89, v49, v106, -v120
	v_fmac_f16_e32 v78, v76, v106
	v_fma_f16 v90, v50, v107, -v121
	v_fma_f16 v92, v51, v108, -v122
	v_fmac_f16_e32 v60, v75, v105
	v_fma_f16 v75, v44, v105, -v127
	v_fma_f16 v73, v47, v106, -v128
	;; [unrolled: 1-line block ×4, first 2 shown]
	v_add_f16_e32 v31, v102, v103
	v_fmac_f16_e32 v96, v58, v106
	v_add_f16_e32 v43, v101, v104
	v_fmac_f16_e32 v88, v59, v108
	v_fmac_f16_e32 v72, v110, v108
	v_sub_f16_e32 v32, v101, v102
	v_sub_f16_e32 v42, v104, v103
	;; [unrolled: 1-line block ×4, first 2 shown]
	v_add_f16_e32 v46, v37, v99
	v_add_f16_e32 v47, v97, v98
	;; [unrolled: 1-line block ×3, first 2 shown]
	v_sub_f16_e32 v53, v97, v99
	v_sub_f16_e32 v54, v98, v100
	v_add_f16_e32 v110, v81, v82
	v_add_f16_e32 v115, v83, v84
	v_fmac_f16_e32 v80, v109, v108
	v_fmac_f16_e32 v68, v111, v105
	;; [unrolled: 1-line block ×5, first 2 shown]
	v_add_f16_e32 v29, v35, v101
	v_sub_f16_e32 v50, v99, v97
	v_sub_f16_e32 v51, v100, v98
	v_add_f16_e32 v56, v89, v90
	v_add_f16_e32 v106, v91, v92
	;; [unrolled: 1-line block ×4, first 2 shown]
	v_sub_f16_e32 v40, v95, v93
	v_sub_f16_e32 v107, v89, v91
	;; [unrolled: 1-line block ×3, first 2 shown]
	v_fma_f16 v127, -0.5, v31, v35
	v_sub_f16_e32 v41, v96, v94
	v_add_f16_e32 v109, v33, v83
	v_fmac_f16_e32 v35, -0.5, v43
	v_sub_f16_e32 v48, v85, v88
	v_sub_f16_e32 v49, v86, v87
	v_add_f16_e32 v55, v30, v91
	v_sub_f16_e32 v59, v91, v89
	v_sub_f16_e32 v105, v92, v90
	;; [unrolled: 1-line block ×8, first 2 shown]
	v_add_f16_e32 v118, v3, v75
	v_add_f16_e32 v42, v32, v42
	;; [unrolled: 1-line block ×4, first 2 shown]
	v_fma_f16 v44, -0.5, v47, v37
	v_fmac_f16_e32 v37, -0.5, v52
	v_add_f16_e32 v46, v53, v54
	v_fma_f16 v54, -0.5, v110, v33
	v_fmac_f16_e32 v33, -0.5, v115
	v_sub_f16_e32 v57, v77, v80
	v_sub_f16_e32 v58, v78, v79
	;; [unrolled: 1-line block ×4, first 2 shown]
	v_add_f16_e32 v29, v29, v102
	v_add_f16_e32 v45, v50, v51
	v_fma_f16 v50, -0.5, v56, v30
	v_fmac_f16_e32 v30, -0.5, v106
	v_fma_f16 v31, -0.5, v119, v3
	v_fmac_f16_e32 v3, -0.5, v124
	v_add_f16_e32 v52, v107, v108
	v_fmamk_f16 v108, v40, 0x3b9c, v127
	v_add_f16_e32 v53, v109, v81
	v_fmamk_f16 v109, v41, 0xbb9c, v35
	v_fmac_f16_e32 v35, 0x3b9c, v41
	v_add_f16_e32 v47, v55, v89
	v_add_f16_e32 v51, v59, v105
	v_add_f16_e32 v55, v113, v114
	v_add_f16_e32 v56, v116, v117
	v_add_f16_e32 v59, v118, v73
	v_fmac_f16_e32 v127, 0xbb9c, v40
	v_fmamk_f16 v113, v48, 0x3b9c, v44
	v_fmac_f16_e32 v44, 0xbb9c, v48
	v_fmamk_f16 v114, v49, 0xbb9c, v37
	;; [unrolled: 2-line block ×4, first 2 shown]
	v_fmac_f16_e32 v33, 0x3b9c, v112
	v_sub_f16_e32 v122, v75, v73
	v_sub_f16_e32 v123, v76, v74
	;; [unrolled: 1-line block ×4, first 2 shown]
	v_add_f16_e32 v107, v29, v103
	v_add_f16_e32 v110, v32, v98
	v_fmamk_f16 v115, v57, 0x3b9c, v50
	v_fmac_f16_e32 v50, 0xbb9c, v57
	v_fmamk_f16 v116, v58, 0xbb9c, v30
	v_fmac_f16_e32 v30, 0x3b9c, v58
	;; [unrolled: 2-line block ×4, first 2 shown]
	v_fmac_f16_e32 v108, 0x38b4, v41
	v_fmac_f16_e32 v109, 0x38b4, v40
	;; [unrolled: 1-line block ×3, first 2 shown]
	v_add_f16_e32 v47, v47, v90
	v_add_f16_e32 v53, v53, v82
	;; [unrolled: 1-line block ×3, first 2 shown]
	v_fmac_f16_e32 v127, 0xb8b4, v41
	v_fmac_f16_e32 v44, 0xb8b4, v49
	;; [unrolled: 1-line block ×5, first 2 shown]
	v_add_f16_e32 v105, v122, v123
	v_add_f16_e32 v106, v125, v126
	;; [unrolled: 1-line block ×3, first 2 shown]
	v_fmac_f16_e32 v113, 0x38b4, v49
	v_fmac_f16_e32 v114, 0x38b4, v48
	;; [unrolled: 1-line block ×15, first 2 shown]
	v_add_f16_e32 v40, v110, v100
	v_add_f16_e32 v41, v47, v92
	v_add_f16_e32 v47, v53, v84
	v_add_f16_e32 v48, v59, v76
	v_fmac_f16_e32 v127, 0x34f2, v42
	v_fmac_f16_e32 v44, 0x34f2, v45
	;; [unrolled: 1-line block ×17, first 2 shown]
	ds_store_b16 v66, v107
	ds_store_b16 v66, v108 offset:16
	ds_store_b16 v66, v109 offset:32
	ds_store_b16 v66, v35 offset:48
	ds_store_b16 v66, v127 offset:64
	ds_store_b16 v65, v40
	ds_store_b16 v65, v113 offset:16
	ds_store_b16 v65, v114 offset:32
	ds_store_b16 v65, v37 offset:48
	ds_store_b16 v65, v44 offset:64
	;; [unrolled: 5-line block ×5, first 2 shown]
	global_wb scope:SCOPE_SE
	s_wait_dscnt 0x0
	s_barrier_signal -1
	s_barrier_wait -1
	global_inv scope:SCOPE_SE
	ds_load_u16 v37, v21
	ds_load_u16 v54, v21 offset:400
	ds_load_u16 v46, v21 offset:512
	;; [unrolled: 1-line block ×7, first 2 shown]
	ds_load_u16 v33, v22
	ds_load_u16 v56, v21 offset:1200
	ds_load_u16 v41, v21 offset:1024
	;; [unrolled: 1-line block ×10, first 2 shown]
	ds_load_u16 v35, v24
	ds_load_u16 v49, v21 offset:2624
                                        ; implicit-def: $vgpr50
                                        ; implicit-def: $vgpr52
	s_and_saveexec_b32 s1, s0
	s_cbranch_execz .LBB0_37
; %bb.36:
	ds_load_u16 v32, v21 offset:736
	ds_load_u16 v3, v21 offset:1136
	ds_load_u16 v31, v21 offset:1536
	ds_load_u16 v0, v21 offset:1936
	ds_load_u16 v52, v21 offset:2336
	ds_load_u16 v29, v23
	ds_load_u16 v50, v21 offset:2736
.LBB0_37:
	s_wait_alu 0xfffe
	s_or_b32 exec_lo, exec_lo, s1
	v_add_f16_e32 v30, v96, v94
	v_add_f16_e32 v105, v38, v95
	v_sub_f16_e32 v101, v101, v104
	v_sub_f16_e32 v102, v102, v103
	;; [unrolled: 1-line block ×3, first 2 shown]
	v_fma_f16 v104, -0.5, v30, v38
	v_add_f16_e32 v106, v95, v93
	v_sub_f16_e32 v95, v96, v95
	v_add_f16_e32 v96, v105, v96
	v_sub_f16_e32 v30, v93, v94
	v_fmamk_f16 v105, v101, 0xbb9c, v104
	v_sub_f16_e32 v107, v94, v93
	v_fmac_f16_e32 v104, 0x3b9c, v101
	v_add_f16_e32 v94, v96, v94
	v_fmac_f16_e32 v38, -0.5, v106
	v_add_f16_e32 v30, v103, v30
	v_fmac_f16_e32 v105, 0xb8b4, v102
	v_fmac_f16_e32 v104, 0x38b4, v102
	v_add_f16_e32 v93, v94, v93
	v_add_f16_e32 v94, v95, v107
	;; [unrolled: 1-line block ×3, first 2 shown]
	v_fmamk_f16 v96, v102, 0x3b9c, v38
	v_fmac_f16_e32 v105, 0x34f2, v30
	v_fmac_f16_e32 v104, 0x34f2, v30
	;; [unrolled: 1-line block ×3, first 2 shown]
	v_add_f16_e32 v30, v95, v86
	v_add_f16_e32 v103, v86, v87
	v_fmac_f16_e32 v96, 0xb8b4, v101
	v_add_f16_e32 v102, v85, v88
	v_fmac_f16_e32 v38, 0x38b4, v101
	v_add_f16_e32 v30, v30, v87
	v_fma_f16 v103, -0.5, v103, v39
	v_sub_f16_e32 v99, v99, v100
	v_fmac_f16_e32 v96, 0x34f2, v94
	v_sub_f16_e32 v97, v97, v98
	v_sub_f16_e32 v98, v85, v86
	;; [unrolled: 1-line block ×3, first 2 shown]
	v_fmac_f16_e32 v39, -0.5, v102
	v_fmac_f16_e32 v38, 0x34f2, v94
	v_add_f16_e32 v94, v30, v88
	v_sub_f16_e32 v30, v86, v85
	v_sub_f16_e32 v85, v87, v88
	v_add_f16_e32 v86, v36, v77
	v_add_f16_e32 v87, v78, v79
	;; [unrolled: 1-line block ×3, first 2 shown]
	v_fmamk_f16 v100, v97, 0x3b9c, v39
	v_add_f16_e32 v30, v30, v85
	v_fmac_f16_e32 v39, 0xbb9c, v97
	v_add_f16_e32 v85, v86, v78
	v_fma_f16 v86, -0.5, v87, v36
	v_sub_f16_e32 v87, v91, v92
	v_fmac_f16_e32 v100, 0xb8b4, v99
	v_fmac_f16_e32 v39, 0x38b4, v99
	v_add_f16_e32 v91, v77, v80
	v_sub_f16_e32 v89, v89, v90
	v_fmamk_f16 v88, v87, 0xbb9c, v86
	v_sub_f16_e32 v90, v77, v78
	v_sub_f16_e32 v92, v80, v79
	v_fmac_f16_e32 v86, 0x3b9c, v87
	v_sub_f16_e32 v77, v78, v77
	v_sub_f16_e32 v78, v79, v80
	v_fmac_f16_e32 v100, 0x34f2, v30
	v_add_f16_e32 v85, v85, v79
	v_fmac_f16_e32 v39, 0x34f2, v30
	v_fmac_f16_e32 v36, -0.5, v91
	v_fmac_f16_e32 v88, 0xb8b4, v89
	v_add_f16_e32 v30, v90, v92
	v_fmac_f16_e32 v86, 0x38b4, v89
	v_add_f16_e32 v79, v61, v71
	v_add_f16_e32 v77, v77, v78
	;; [unrolled: 1-line block ×4, first 2 shown]
	v_fmamk_f16 v90, v89, 0x3b9c, v36
	v_fmac_f16_e32 v88, 0x34f2, v30
	v_fmac_f16_e32 v36, 0xbb9c, v89
	v_fma_f16 v79, -0.5, v79, v34
	v_sub_f16_e32 v80, v83, v84
	v_fmac_f16_e32 v86, 0x34f2, v30
	v_add_f16_e32 v30, v78, v61
	v_fmac_f16_e32 v90, 0xb8b4, v87
	v_fmac_f16_e32 v36, 0x38b4, v87
	v_fmamk_f16 v78, v80, 0xbb9c, v79
	v_sub_f16_e32 v81, v81, v82
	v_sub_f16_e32 v82, v60, v61
	;; [unrolled: 1-line block ×3, first 2 shown]
	v_fmac_f16_e32 v79, 0x3b9c, v80
	v_add_f16_e32 v84, v60, v72
	v_add_f16_e32 v30, v30, v71
	v_fmac_f16_e32 v90, 0x34f2, v77
	v_fmac_f16_e32 v78, 0xb8b4, v81
	v_add_f16_e32 v82, v82, v83
	v_fmac_f16_e32 v79, 0x38b4, v81
	v_fmac_f16_e32 v34, -0.5, v84
	v_fmac_f16_e32 v36, 0x34f2, v77
	v_add_f16_e32 v77, v30, v72
	v_sub_f16_e32 v61, v61, v60
	v_sub_f16_e32 v71, v71, v72
	v_add_f16_e32 v72, v28, v68
	v_fmac_f16_e32 v78, 0x34f2, v82
	v_fmac_f16_e32 v79, 0x34f2, v82
	v_fmamk_f16 v82, v81, 0x3b9c, v34
	v_add_f16_e32 v30, v69, v70
	v_fmac_f16_e32 v34, 0xbb9c, v81
	v_add_f16_e32 v61, v61, v71
	v_add_f16_e32 v71, v72, v69
	;; [unrolled: 1-line block ×3, first 2 shown]
	v_fma_f16 v60, -0.5, v30, v28
	v_sub_f16_e32 v75, v75, v76
	v_fmac_f16_e32 v82, 0xb8b4, v80
	v_fmac_f16_e32 v34, 0x38b4, v80
	v_sub_f16_e32 v73, v73, v74
	v_fmac_f16_e32 v28, -0.5, v72
	v_fmamk_f16 v95, v99, 0xbb9c, v103
	v_fmac_f16_e32 v103, 0x3b9c, v99
	v_fmamk_f16 v30, v75, 0xbb9c, v60
	v_fmac_f16_e32 v82, 0x34f2, v61
	v_fmac_f16_e32 v34, 0x34f2, v61
	v_sub_f16_e32 v72, v68, v69
	v_sub_f16_e32 v74, v67, v70
	v_fmac_f16_e32 v60, 0x3b9c, v75
	v_fmamk_f16 v61, v73, 0x3b9c, v28
	v_sub_f16_e32 v68, v69, v68
	v_sub_f16_e32 v69, v70, v67
	v_fmac_f16_e32 v28, 0xbb9c, v73
	v_add_f16_e32 v71, v71, v70
	v_fmac_f16_e32 v95, 0xb8b4, v97
	v_fmac_f16_e32 v103, 0x38b4, v97
	;; [unrolled: 1-line block ×3, first 2 shown]
	v_add_f16_e32 v70, v72, v74
	v_fmac_f16_e32 v60, 0x38b4, v73
	v_fmac_f16_e32 v61, 0xb8b4, v75
	v_add_f16_e32 v68, v68, v69
	v_fmac_f16_e32 v28, 0x38b4, v75
	v_add_f16_e32 v67, v71, v67
	v_fmac_f16_e32 v95, 0x34f2, v98
	v_fmac_f16_e32 v103, 0x34f2, v98
	;; [unrolled: 1-line block ×6, first 2 shown]
	global_wb scope:SCOPE_SE
	s_wait_dscnt 0x0
	s_barrier_signal -1
	s_barrier_wait -1
	global_inv scope:SCOPE_SE
	ds_store_b16 v66, v93
	ds_store_b16 v66, v105 offset:16
	ds_store_b16 v66, v96 offset:32
	ds_store_b16 v66, v38 offset:48
	ds_store_b16 v66, v104 offset:64
	ds_store_b16 v65, v94
	ds_store_b16 v65, v95 offset:16
	ds_store_b16 v65, v100 offset:32
	ds_store_b16 v65, v39 offset:48
	ds_store_b16 v65, v103 offset:64
	;; [unrolled: 5-line block ×5, first 2 shown]
	global_wb scope:SCOPE_SE
	s_wait_dscnt 0x0
	s_barrier_signal -1
	s_barrier_wait -1
	global_inv scope:SCOPE_SE
	ds_load_u16 v38, v21
	ds_load_u16 v79, v21 offset:400
	ds_load_u16 v71, v21 offset:512
	;; [unrolled: 1-line block ×7, first 2 shown]
	ds_load_u16 v34, v22
	ds_load_u16 v81, v21 offset:1200
	ds_load_u16 v66, v21 offset:1024
	;; [unrolled: 1-line block ×10, first 2 shown]
	ds_load_u16 v36, v24
	ds_load_u16 v74, v21 offset:2624
                                        ; implicit-def: $vgpr75
                                        ; implicit-def: $vgpr76
	s_and_saveexec_b32 s1, s0
	s_cbranch_execz .LBB0_39
; %bb.38:
	ds_load_u16 v61, v21 offset:736
	ds_load_u16 v28, v21 offset:1136
	;; [unrolled: 1-line block ×5, first 2 shown]
	ds_load_u16 v30, v23
	ds_load_u16 v75, v21 offset:2736
.LBB0_39:
	s_wait_alu 0xfffe
	s_or_b32 exec_lo, exec_lo, s1
	v_subrev_nc_u32_e32 v62, 40, v9
	v_cmp_gt_u32_e64 s1, 40, v9
	v_dual_mov_b32 v63, 0 :: v_dual_and_b32 v86, 0xff, v20
	v_and_b32_e32 v65, 0xff, v18
	v_and_b32_e32 v85, 0xff, v19
	s_wait_alu 0xf1ff
	v_cndmask_b32_e64 v64, v62, v9, s1
	s_delay_alu instid0(VALU_DEP_3) | instskip(NEXT) | instid1(VALU_DEP_3)
	v_mul_lo_u16 v65, 0xcd, v65
	v_mul_lo_u16 v85, 0xcd, v85
	s_delay_alu instid0(VALU_DEP_3) | instskip(SKIP_1) | instid1(VALU_DEP_4)
	v_mul_i32_i24_e32 v62, 6, v64
	v_lshlrev_b32_e32 v64, 1, v64
	v_lshrrev_b16 v65, 13, v65
	s_delay_alu instid0(VALU_DEP_3) | instskip(NEXT) | instid1(VALU_DEP_1)
	v_lshlrev_b64_e32 v[62:63], 2, v[62:63]
	v_add_co_u32 v62, s1, s4, v62
	s_wait_alu 0xf1ff
	s_delay_alu instid0(VALU_DEP_2)
	v_add_co_ci_u32_e64 v63, s1, s5, v63, s1
	v_cmp_lt_u32_e64 s1, 39, v9
	s_clause 0x1
	global_load_b128 v[101:104], v[62:63], off offset:152
	global_load_b64 v[87:88], v[62:63], off offset:168
	v_lshrrev_b16 v63, 13, v85
	v_mul_lo_u16 v85, 0xcd, v86
	v_mul_lo_u16 v62, v65, 40
	v_and_b32_e32 v65, 0xffff, v65
	s_delay_alu instid0(VALU_DEP_4) | instskip(NEXT) | instid1(VALU_DEP_4)
	v_mul_lo_u16 v86, v63, 40
	v_lshrrev_b16 v85, 13, v85
	s_delay_alu instid0(VALU_DEP_4)
	v_sub_nc_u16 v62, v18, v62
	v_and_b32_e32 v63, 0xffff, v63
	v_mul_u32_u24_e32 v65, 0x230, v65
	v_sub_nc_u16 v86, v19, v86
	v_mul_lo_u16 v85, v85, 40
	v_and_b32_e32 v62, 0xff, v62
	v_mul_u32_u24_e32 v63, 0x230, v63
	s_delay_alu instid0(VALU_DEP_4) | instskip(NEXT) | instid1(VALU_DEP_4)
	v_and_b32_e32 v86, 0xff, v86
	v_sub_nc_u16 v85, v20, v85
	s_delay_alu instid0(VALU_DEP_4) | instskip(NEXT) | instid1(VALU_DEP_3)
	v_mul_u32_u24_e32 v89, 6, v62
	v_mul_u32_u24_e32 v90, 6, v86
	s_delay_alu instid0(VALU_DEP_3) | instskip(NEXT) | instid1(VALU_DEP_3)
	v_and_b32_e32 v85, 0xff, v85
	v_lshlrev_b32_e32 v89, 2, v89
	v_lshlrev_b32_e32 v86, 1, v86
	s_delay_alu instid0(VALU_DEP_4) | instskip(NEXT) | instid1(VALU_DEP_4)
	v_lshlrev_b32_e32 v90, 2, v90
	v_mul_u32_u24_e32 v91, 6, v85
	s_clause 0x2
	global_load_b128 v[105:108], v89, s[4:5] offset:152
	global_load_b64 v[117:118], v89, s[4:5] offset:168
	global_load_b128 v[109:112], v90, s[4:5] offset:152
	v_add3_u32 v63, 0, v63, v86
	v_lshlrev_b32_e32 v89, 2, v91
	s_clause 0x2
	global_load_b64 v[119:120], v90, s[4:5] offset:168
	global_load_b128 v[113:116], v89, s[4:5] offset:152
	global_load_b64 v[121:122], v89, s[4:5] offset:168
	s_wait_alu 0xf1ff
	v_cndmask_b32_e64 v89, 0, 0x230, s1
	v_lshlrev_b32_e32 v90, 1, v62
	v_lshl_add_u32 v62, v85, 1, 0
	global_wb scope:SCOPE_SE
	s_wait_loadcnt_dscnt 0x0
	s_barrier_signal -1
	v_add3_u32 v64, 0, v89, v64
	v_add3_u32 v65, 0, v65, v90
	s_barrier_wait -1
	global_inv scope:SCOPE_SE
	v_lshrrev_b32_e32 v85, 16, v101
	v_lshrrev_b32_e32 v86, 16, v102
	;; [unrolled: 1-line block ×6, first 2 shown]
	v_mul_f16_e32 v96, v79, v85
	v_mul_f16_e32 v89, v54, v85
	;; [unrolled: 1-line block ×12, first 2 shown]
	v_fma_f16 v96, v54, v101, -v96
	v_fmac_f16_e32 v89, v79, v101
	v_fma_f16 v95, v57, v102, -v85
	v_fmac_f16_e32 v90, v82, v102
	v_fmac_f16_e32 v86, v81, v103
	v_fma_f16 v99, v59, v104, -v91
	v_fmac_f16_e32 v92, v84, v104
	v_fma_f16 v101, v58, v87, -v98
	;; [unrolled: 2-line block ×3, first 2 shown]
	v_fmac_f16_e32 v100, v80, v88
	v_lshrrev_b32_e32 v54, 16, v105
	v_lshrrev_b32_e32 v55, 16, v106
	;; [unrolled: 1-line block ×5, first 2 shown]
	v_fma_f16 v97, v56, v103, -v97
	v_lshrrev_b32_e32 v56, 16, v107
	v_lshrrev_b32_e32 v79, 16, v109
	;; [unrolled: 1-line block ×13, first 2 shown]
	v_add_f16_e64 v128, v96, v102
	v_sub_f16_e64 v129, v89, v100
	v_add_f16_e64 v130, v95, v101
	v_sub_f16_e64 v131, v90, v94
	v_sub_f16_e64 v133, v92, v86
	v_mul_f16_e64 v134, v71, v54
	v_mul_f16_e64 v135, v70, v55
	v_mul_f16_e32 v91, v43, v57
	v_mul_f16_e64 v138, v78, v58
	v_mul_f16_e64 v139, v39, v59
	v_mul_f16_e32 v88, v45, v55
	v_mul_f16_e64 v136, v69, v56
	v_mul_f16_e32 v98, v40, v59
	v_mul_f16_e64 v140, v72, v79
	v_mul_f16_e64 v141, v66, v81
	;; [unrolled: 1-line block ×4, first 2 shown]
	v_add_f16_e64 v132, v97, v99
	v_mul_f16_e32 v87, v46, v54
	v_mul_f16_e32 v85, v44, v56
	v_mul_f16_e64 v137, v68, v57
	v_mul_f16_e32 v93, v53, v58
	v_mul_f16_e32 v80, v47, v79
	v_mul_f16_e64 v142, v77, v82
	v_mul_f16_e32 v79, v51, v82
	v_mul_f16_e64 v143, v73, v83
	v_mul_f16_e32 v82, v48, v83
	v_mul_f16_e32 v83, v42, v84
	;; [unrolled: 1-line block ×15, first 2 shown]
	v_add_f16_e64 v127, v130, v128
	v_add_f16_e64 v147, v133, v131
	v_sub_f16_e64 v148, v133, v131
	v_sub_f16_e64 v131, v131, v129
	v_fma_f16 v46, v46, v105, -v134
	v_fma_f16 v45, v45, v106, -v135
	v_fmac_f16_e32 v91, v68, v108
	v_fma_f16 v53, v53, v117, -v138
	v_fma_f16 v68, v40, v118, -v139
	v_mul_f16_e32 v81, v41, v81
	v_fmac_f16_e32 v88, v70, v106
	v_fma_f16 v70, v44, v107, -v136
	v_fmac_f16_e32 v98, v39, v118
	v_fma_f16 v40, v47, v109, -v140
	v_fma_f16 v39, v41, v110, -v141
	;; [unrolled: 1-line block ×4, first 2 shown]
	v_sub_f16_e64 v146, v130, v128
	v_sub_f16_e64 v128, v128, v132
	;; [unrolled: 1-line block ×4, first 2 shown]
	v_fmac_f16_e32 v85, v69, v107
	v_fma_f16 v69, v43, v108, -v137
	v_fmac_f16_e32 v93, v78, v117
	v_fma_f16 v43, v48, v112, -v143
	v_fmac_f16_e32 v56, v28, v114
	v_fmac_f16_e32 v54, v60, v115
	;; [unrolled: 1-line block ×3, first 2 shown]
	v_fma_f16 v1, v52, v121, -v125
	v_fma_f16 v60, v50, v122, -v126
	v_add_f16_e64 v28, v132, v127
	v_mul_f16_e64 v48, 0xb846, v148
	v_mul_f16_e64 v49, 0x3b00, v131
	v_add_f16_e32 v50, v46, v68
	v_add_f16_e32 v52, v45, v53
	v_fmac_f16_e32 v87, v71, v105
	v_fma_f16 v41, v51, v111, -v142
	v_fmac_f16_e32 v81, v66, v110
	v_fmac_f16_e32 v79, v77, v111
	;; [unrolled: 1-line block ×7, first 2 shown]
	v_add_f16_e32 v73, v40, v44
	v_add_f16_e32 v75, v39, v42
	v_fma_f16 v66, v32, v113, -v103
	v_fmac_f16_e32 v55, v61, v113
	v_fma_f16 v3, v3, v114, -v104
	v_fma_f16 v61, v31, v115, -v123
	v_add_f16_e64 v31, v147, v129
	v_mul_f16_e64 v32, 0x3a52, v128
	v_mul_f16_e64 v47, 0x2b26, v130
	v_sub_f16_e32 v67, v88, v93
	v_add_f16_e32 v71, v70, v69
	v_sub_f16_e32 v72, v91, v85
	v_add_f16_e32 v37, v37, v28
	v_fma_f16 v104, 0x3574, v133, v48
	v_fma_f16 v48, v131, 0x3b00, -v48
	v_fma_f16 v49, v133, 0xb574, -v49
	v_add_f16_e32 v105, v52, v50
	v_sub_f16_e32 v51, v87, v98
	v_add_f16_e32 v77, v41, v43
	v_fmac_f16_e32 v58, v76, v121
	v_sub_f16_e32 v76, v81, v83
	v_sub_f16_e32 v78, v82, v79
	;; [unrolled: 1-line block ×3, first 2 shown]
	v_add_f16_e32 v109, v75, v73
	v_fma_f16 v103, 0x2b26, v130, v32
	v_fma_f16 v47, v146, 0x39e0, -v47
	v_fma_f16 v32, v146, 0xb9e0, -v32
	v_sub_f16_e32 v106, v52, v50
	v_sub_f16_e32 v50, v50, v71
	;; [unrolled: 1-line block ×4, first 2 shown]
	v_fmamk_f16 v28, v28, 0xbcab, v37
	v_fmac_f16_e32 v104, 0x370e, v31
	v_fmac_f16_e32 v48, 0x370e, v31
	;; [unrolled: 1-line block ×3, first 2 shown]
	v_add_f16_e32 v31, v71, v105
	v_add_f16_e32 v107, v72, v67
	v_sub_f16_e32 v67, v67, v51
	v_sub_f16_e32 v110, v75, v73
	;; [unrolled: 1-line block ×5, first 2 shown]
	v_add_f16_e32 v111, v78, v76
	v_sub_f16_e32 v76, v76, v74
	v_add_f16_e32 v77, v77, v109
	v_sub_f16_e32 v72, v51, v72
	v_mul_f16_e32 v50, 0x3a52, v50
	v_mul_f16_e32 v71, 0x2b26, v52
	;; [unrolled: 1-line block ×3, first 2 shown]
	v_add_f16_e32 v103, v103, v28
	v_add_f16_e32 v47, v47, v28
	;; [unrolled: 1-line block ×5, first 2 shown]
	v_mul_f16_e32 v107, 0x3b00, v67
	v_mul_f16_e32 v108, 0x2b26, v75
	v_sub_f16_e32 v78, v74, v78
	v_mul_f16_e32 v109, 0xb846, v112
	v_add_f16_e32 v74, v111, v74
	v_mul_f16_e32 v73, 0x3a52, v73
	v_mul_f16_e32 v111, 0x3b00, v76
	v_add_f16_e32 v33, v33, v77
	v_fmamk_f16 v35, v52, 0x2b26, v50
	v_fma_f16 v52, v106, 0x39e0, -v71
	v_fmamk_f16 v71, v72, 0x3574, v105
	v_fmamk_f16 v31, v31, 0xbcab, v32
	v_fma_f16 v50, v106, 0xb9e0, -v50
	v_fma_f16 v72, v72, 0xb574, -v107
	v_add_f16_e32 v107, v104, v103
	v_fma_f16 v67, v67, 0x3b00, -v105
	v_fma_f16 v105, v110, 0x39e0, -v108
	v_add_f16_e32 v108, v49, v28
	v_fmamk_f16 v106, v78, 0x3574, v109
	v_fma_f16 v76, v76, 0x3b00, -v109
	v_sub_f16_e32 v109, v47, v48
	v_fmamk_f16 v75, v75, 0x2b26, v73
	v_fma_f16 v73, v110, 0xb9e0, -v73
	v_fma_f16 v78, v78, 0xb574, -v111
	v_add_f16_e32 v47, v48, v47
	v_sub_f16_e32 v28, v28, v49
	v_fmamk_f16 v49, v77, 0xbcab, v33
	v_sub_f16_e32 v48, v103, v104
	v_fmac_f16_e32 v71, 0x370e, v51
	ds_store_b16 v64, v37
	ds_store_b16 v64, v107 offset:80
	ds_store_b16 v64, v108 offset:160
	;; [unrolled: 1-line block ×6, first 2 shown]
	v_add_f16_e32 v28, v35, v31
	v_fmac_f16_e32 v72, 0x370e, v51
	v_add_f16_e32 v35, v52, v31
	v_add_f16_e32 v31, v50, v31
	v_fmac_f16_e32 v67, 0x370e, v51
	v_fma_f16 v0, v0, v116, -v124
	v_fmac_f16_e32 v106, 0x370e, v74
	v_fmac_f16_e32 v76, 0x370e, v74
	;; [unrolled: 1-line block ×3, first 2 shown]
	v_add_f16_e32 v37, v75, v49
	v_add_f16_e32 v47, v105, v49
	;; [unrolled: 1-line block ×5, first 2 shown]
	v_sub_f16_e32 v51, v35, v67
	v_add_f16_e32 v35, v67, v35
	v_sub_f16_e32 v31, v31, v72
	v_sub_f16_e32 v28, v28, v71
	v_add_f16_e32 v52, v106, v37
	v_add_f16_e32 v67, v78, v48
	v_sub_f16_e32 v71, v47, v76
	v_add_f16_e32 v47, v76, v47
	v_sub_f16_e32 v48, v48, v78
	v_sub_f16_e32 v37, v37, v106
	ds_store_b16 v65, v32
	ds_store_b16 v65, v49 offset:80
	ds_store_b16 v65, v50 offset:160
	;; [unrolled: 1-line block ×6, first 2 shown]
	ds_store_b16 v63, v33
	ds_store_b16 v63, v52 offset:80
	ds_store_b16 v63, v67 offset:160
	;; [unrolled: 1-line block ×6, first 2 shown]
	s_and_saveexec_b32 s1, s0
	s_cbranch_execz .LBB0_41
; %bb.40:
	v_add_f16_e32 v28, v66, v60
	v_add_f16_e32 v31, v3, v1
	;; [unrolled: 1-line block ×3, first 2 shown]
	v_sub_f16_e32 v35, v57, v54
	v_sub_f16_e32 v47, v56, v58
	;; [unrolled: 1-line block ×3, first 2 shown]
	v_add_f16_e32 v37, v31, v28
	v_sub_f16_e32 v48, v28, v32
	v_sub_f16_e32 v49, v32, v31
	;; [unrolled: 1-line block ×4, first 2 shown]
	v_add_f16_e32 v32, v32, v37
	v_sub_f16_e32 v37, v35, v47
	v_add_f16_e32 v35, v35, v47
	v_sub_f16_e32 v47, v47, v33
	v_mul_f16_e32 v31, 0x3a52, v48
	v_add_f16_e32 v29, v29, v32
	v_mul_f16_e32 v37, 0xb846, v37
	v_add_f16_e32 v33, v35, v33
	v_mul_f16_e32 v48, 0x3b00, v47
	v_fmamk_f16 v35, v49, 0x2b26, v31
	v_mul_f16_e32 v49, 0x2b26, v49
	v_fmamk_f16 v32, v32, 0xbcab, v29
	v_fmamk_f16 v51, v50, 0x3574, v37
	v_fma_f16 v31, v28, 0xb9e0, -v31
	v_fma_f16 v48, v50, 0xb574, -v48
	;; [unrolled: 1-line block ×4, first 2 shown]
	v_add_f16_e32 v35, v35, v32
	v_fmac_f16_e32 v51, 0x370e, v33
	v_add_f16_e32 v31, v31, v32
	v_fmac_f16_e32 v48, 0x370e, v33
	v_fmac_f16_e32 v37, 0x370e, v33
	v_add_f16_e32 v28, v28, v32
	v_sub_f16_e32 v32, v35, v51
	v_add_f16_e32 v35, v51, v35
	v_sub_f16_e32 v33, v31, v48
	;; [unrolled: 2-line block ×3, first 2 shown]
	v_add_f16_e32 v28, v37, v28
	ds_store_b16 v62, v29 offset:2240
	ds_store_b16 v62, v35 offset:2320
	;; [unrolled: 1-line block ×7, first 2 shown]
.LBB0_41:
	s_wait_alu 0xfffe
	s_or_b32 exec_lo, exec_lo, s1
	v_add_f16_e32 v28, v89, v100
	v_add_f16_e32 v29, v90, v94
	v_sub_f16_e32 v31, v96, v102
	v_add_f16_e32 v32, v86, v92
	v_sub_f16_e32 v33, v95, v101
	v_sub_f16_e32 v35, v99, v97
	v_add_f16_e32 v37, v29, v28
	v_sub_f16_e32 v47, v29, v28
	v_sub_f16_e32 v28, v28, v32
	;; [unrolled: 1-line block ×3, first 2 shown]
	v_add_f16_e32 v48, v35, v33
	v_add_f16_e32 v32, v32, v37
	v_sub_f16_e32 v37, v35, v33
	v_sub_f16_e32 v33, v33, v31
	;; [unrolled: 1-line block ×3, first 2 shown]
	v_add_f16_e32 v31, v48, v31
	v_add_f16_e32 v67, v38, v32
	v_mul_f16_e32 v28, 0x3a52, v28
	v_mul_f16_e32 v38, 0x2b26, v29
	;; [unrolled: 1-line block ×4, first 2 shown]
	v_fmamk_f16 v32, v32, 0xbcab, v67
	v_fmamk_f16 v29, v29, 0x2b26, v28
	v_fma_f16 v38, v47, 0x39e0, -v38
	v_fma_f16 v28, v47, 0xb9e0, -v28
	v_fmamk_f16 v47, v35, 0x3574, v37
	v_fma_f16 v33, v33, 0x3b00, -v37
	v_fma_f16 v35, v35, 0xb574, -v48
	v_add_f16_e32 v29, v29, v32
	v_add_f16_e32 v37, v38, v32
	;; [unrolled: 1-line block ×3, first 2 shown]
	v_fmac_f16_e32 v47, 0x370e, v31
	v_fmac_f16_e32 v35, 0x370e, v31
	v_fmac_f16_e32 v33, 0x370e, v31
	v_add_f16_e32 v31, v87, v98
	v_add_f16_e32 v32, v88, v93
	v_sub_f16_e32 v38, v45, v53
	v_sub_f16_e32 v45, v69, v70
	v_add_f16_e32 v73, v33, v37
	v_sub_f16_e32 v74, v37, v33
	v_sub_f16_e32 v33, v46, v68
	v_add_f16_e32 v37, v85, v91
	v_add_f16_e32 v46, v32, v31
	v_sub_f16_e32 v48, v32, v31
	v_add_f16_e32 v49, v45, v38
	v_sub_f16_e32 v71, v29, v47
	v_sub_f16_e32 v31, v31, v37
	;; [unrolled: 1-line block ×3, first 2 shown]
	v_add_f16_e32 v37, v37, v46
	v_sub_f16_e32 v46, v45, v38
	v_sub_f16_e32 v38, v38, v33
	;; [unrolled: 1-line block ×3, first 2 shown]
	v_add_f16_e32 v33, v49, v33
	v_add_f16_e32 v68, v36, v37
	v_mul_f16_e32 v36, 0x2b26, v32
	v_mul_f16_e32 v46, 0xb846, v46
	;; [unrolled: 1-line block ×4, first 2 shown]
	v_fmamk_f16 v37, v37, 0xbcab, v68
	v_fma_f16 v36, v48, 0x39e0, -v36
	v_fma_f16 v38, v38, 0x3b00, -v46
	v_sub_f16_e32 v72, v28, v35
	v_fmamk_f16 v32, v32, 0x2b26, v31
	v_fma_f16 v31, v48, 0xb9e0, -v31
	v_fmamk_f16 v48, v45, 0x3574, v46
	v_fma_f16 v45, v45, 0xb574, -v49
	v_add_f16_e32 v36, v36, v37
	v_fmac_f16_e32 v38, 0x370e, v33
	v_add_f16_e32 v69, v35, v28
	v_add_f16_e32 v70, v47, v29
	;; [unrolled: 1-line block ×6, first 2 shown]
	v_fmac_f16_e32 v48, 0x370e, v33
	v_fmac_f16_e32 v45, 0x370e, v33
	v_add_f16_e32 v77, v38, v36
	v_sub_f16_e32 v78, v36, v38
	v_sub_f16_e32 v33, v40, v44
	v_add_f16_e32 v35, v79, v82
	v_sub_f16_e32 v36, v39, v42
	v_sub_f16_e32 v37, v43, v41
	;; [unrolled: 3-line block ×3, first 2 shown]
	v_sub_f16_e32 v29, v35, v29
	v_add_f16_e32 v40, v37, v36
	v_add_f16_e32 v35, v35, v38
	v_sub_f16_e32 v38, v37, v36
	v_sub_f16_e32 v36, v36, v33
	;; [unrolled: 1-line block ×3, first 2 shown]
	v_add_f16_e32 v33, v40, v33
	v_add_f16_e32 v79, v34, v35
	v_mul_f16_e32 v28, 0x3a52, v28
	v_mul_f16_e32 v34, 0x2b26, v29
	;; [unrolled: 1-line block ×4, first 2 shown]
	v_fmamk_f16 v35, v35, 0xbcab, v79
	v_fmamk_f16 v29, v29, 0x2b26, v28
	v_fma_f16 v34, v39, 0x39e0, -v34
	v_fma_f16 v28, v39, 0xb9e0, -v28
	v_fmamk_f16 v39, v37, 0x3574, v38
	v_fma_f16 v36, v36, 0x3b00, -v38
	v_fma_f16 v37, v37, 0xb574, -v40
	v_add_f16_e32 v29, v29, v35
	v_add_f16_e32 v34, v34, v35
	;; [unrolled: 1-line block ×3, first 2 shown]
	v_fmac_f16_e32 v39, 0x370e, v33
	v_fmac_f16_e32 v37, 0x370e, v33
	;; [unrolled: 1-line block ×3, first 2 shown]
	v_sub_f16_e32 v75, v32, v48
	v_sub_f16_e32 v76, v31, v45
	v_add_f16_e32 v80, v45, v31
	v_add_f16_e32 v81, v48, v32
	v_sub_f16_e32 v82, v29, v39
	v_sub_f16_e32 v83, v28, v37
	v_add_f16_e32 v84, v36, v34
	v_sub_f16_e32 v85, v34, v36
	v_add_f16_e32 v86, v37, v28
	v_add_f16_e32 v87, v39, v29
	global_wb scope:SCOPE_SE
	s_wait_dscnt 0x0
	s_barrier_signal -1
	s_barrier_wait -1
	global_inv scope:SCOPE_SE
	ds_load_u16 v29, v27
	ds_load_u16 v36, v21 offset:2352
	ds_load_u16 v34, v22
	ds_load_u16 v40, v23
	;; [unrolled: 1-line block ×3, first 2 shown]
	ds_load_u16 v37, v21 offset:672
	ds_load_u16 v41, v21 offset:784
	;; [unrolled: 1-line block ×10, first 2 shown]
	ds_load_u16 v32, v26
	ds_load_u16 v45, v25
	ds_load_u16 v39, v21 offset:1232
	ds_load_u16 v50, v21 offset:1008
	;; [unrolled: 1-line block ×6, first 2 shown]
	ds_load_u16 v31, v24
	ds_load_u16 v52, v21 offset:2688
	global_wb scope:SCOPE_SE
	s_wait_dscnt 0x0
	s_barrier_signal -1
	s_barrier_wait -1
	global_inv scope:SCOPE_SE
	ds_store_b16 v64, v67
	ds_store_b16 v64, v71 offset:80
	ds_store_b16 v64, v72 offset:160
	ds_store_b16 v64, v73 offset:240
	ds_store_b16 v64, v74 offset:320
	ds_store_b16 v64, v69 offset:400
	ds_store_b16 v64, v70 offset:480
	ds_store_b16 v65, v68
	ds_store_b16 v65, v75 offset:80
	ds_store_b16 v65, v76 offset:160
	ds_store_b16 v65, v77 offset:240
	ds_store_b16 v65, v78 offset:320
	ds_store_b16 v65, v80 offset:400
	ds_store_b16 v65, v81 offset:480
	;; [unrolled: 7-line block ×3, first 2 shown]
	s_and_saveexec_b32 s1, s0
	s_cbranch_execz .LBB0_43
; %bb.42:
	v_add_f16_e32 v55, v55, v59
	v_add_f16_e32 v56, v56, v58
	;; [unrolled: 1-line block ×3, first 2 shown]
	v_sub_f16_e32 v1, v3, v1
	v_sub_f16_e32 v0, v0, v61
	;; [unrolled: 1-line block ×3, first 2 shown]
	v_add_f16_e32 v3, v56, v55
	v_sub_f16_e32 v57, v56, v55
	v_sub_f16_e32 v55, v55, v54
	;; [unrolled: 1-line block ×3, first 2 shown]
	v_add_f16_e32 v59, v0, v1
	v_add_f16_e32 v3, v54, v3
	v_sub_f16_e32 v54, v0, v1
	v_sub_f16_e32 v1, v1, v58
	v_sub_f16_e32 v0, v58, v0
	v_add_f16_e32 v58, v59, v58
	v_add_f16_e32 v30, v30, v3
	v_mul_f16_e32 v55, 0x3a52, v55
	v_mul_f16_e32 v59, 0x2b26, v56
	;; [unrolled: 1-line block ×4, first 2 shown]
	v_fmamk_f16 v3, v3, 0xbcab, v30
	v_fmamk_f16 v56, v56, 0x2b26, v55
	v_fma_f16 v59, v57, 0x39e0, -v59
	v_fma_f16 v55, v57, 0xb9e0, -v55
	v_fmamk_f16 v57, v0, 0x3574, v54
	v_fma_f16 v0, v0, 0xb574, -v60
	v_fma_f16 v1, v1, 0x3b00, -v54
	v_add_f16_e32 v54, v56, v3
	v_add_f16_e32 v56, v59, v3
	v_fmac_f16_e32 v57, 0x370e, v58
	v_add_f16_e32 v3, v55, v3
	v_fmac_f16_e32 v0, 0x370e, v58
	v_fmac_f16_e32 v1, 0x370e, v58
	s_delay_alu instid0(VALU_DEP_4) | instskip(NEXT) | instid1(VALU_DEP_3)
	v_sub_f16_e32 v55, v54, v57
	v_sub_f16_e32 v58, v3, v0
	s_delay_alu instid0(VALU_DEP_3)
	v_add_f16_e32 v59, v1, v56
	v_sub_f16_e32 v1, v56, v1
	v_add_f16_e32 v0, v0, v3
	v_add_f16_e32 v3, v57, v54
	ds_store_b16 v62, v30 offset:2240
	ds_store_b16 v62, v55 offset:2320
	ds_store_b16 v62, v58 offset:2400
	ds_store_b16 v62, v59 offset:2480
	ds_store_b16 v62, v1 offset:2560
	ds_store_b16 v62, v0 offset:2640
	ds_store_b16 v62, v3 offset:2720
.LBB0_43:
	s_wait_alu 0xfffe
	s_or_b32 exec_lo, exec_lo, s1
	global_wb scope:SCOPE_SE
	s_wait_dscnt 0x0
	s_barrier_signal -1
	s_barrier_wait -1
	global_inv scope:SCOPE_SE
	s_and_saveexec_b32 s0, vcc_lo
	s_cbranch_execz .LBB0_45
; %bb.44:
	v_dual_mov_b32 v67, 0 :: v_dual_lshlrev_b32 v66, 2, v2
	s_delay_alu instid0(VALU_DEP_1) | instskip(SKIP_1) | instid1(VALU_DEP_1)
	v_lshlrev_b64_e32 v[0:1], 2, v[66:67]
	v_lshlrev_b32_e32 v66, 2, v20
	v_lshlrev_b64_e32 v[54:55], 2, v[66:67]
	v_lshlrev_b32_e32 v66, 2, v19
	s_delay_alu instid0(VALU_DEP_4) | instskip(SKIP_2) | instid1(VALU_DEP_3)
	v_add_co_u32 v0, vcc_lo, s4, v0
	s_wait_alu 0xfffd
	v_add_co_ci_u32_e32 v1, vcc_lo, s5, v1, vcc_lo
	v_lshlrev_b64_e32 v[19:20], 2, v[66:67]
	v_add_co_u32 v54, vcc_lo, s4, v54
	s_wait_alu 0xfffd
	v_add_co_ci_u32_e32 v55, vcc_lo, s5, v55, vcc_lo
	v_lshlrev_b32_e32 v66, 2, v18
	s_delay_alu instid0(VALU_DEP_4)
	v_add_co_u32 v19, vcc_lo, s4, v19
	s_wait_alu 0xfffd
	v_add_co_ci_u32_e32 v20, vcc_lo, s5, v20, vcc_lo
	s_clause 0x2
	global_load_b128 v[0:3], v[0:1], off offset:1112
	global_load_b128 v[54:57], v[54:55], off offset:1112
	global_load_b128 v[58:61], v[19:20], off offset:1112
	v_lshlrev_b64_e32 v[18:19], 2, v[66:67]
	v_lshlrev_b32_e32 v66, 2, v9
	s_delay_alu instid0(VALU_DEP_2) | instskip(SKIP_1) | instid1(VALU_DEP_3)
	v_add_co_u32 v18, vcc_lo, s4, v18
	s_wait_alu 0xfffd
	v_add_co_ci_u32_e32 v19, vcc_lo, s5, v19, vcc_lo
	global_load_b128 v[62:65], v[18:19], off offset:1112
	v_lshlrev_b64_e32 v[18:19], 2, v[66:67]
	s_delay_alu instid0(VALU_DEP_1) | instskip(SKIP_1) | instid1(VALU_DEP_2)
	v_add_co_u32 v18, vcc_lo, s4, v18
	s_wait_alu 0xfffd
	v_add_co_ci_u32_e32 v19, vcc_lo, s5, v19, vcc_lo
	global_load_b128 v[66:69], v[18:19], off offset:1112
	ds_load_u16 v18, v21 offset:1008
	ds_load_u16 v19, v21 offset:1568
	ds_load_u16 v20, v21 offset:2128
	ds_load_u16 v26, v26
	ds_load_u16 v25, v25
	;; [unrolled: 1-line block ×5, first 2 shown]
	ds_load_u16 v22, v21 offset:2688
	ds_load_u16 v24, v21 offset:2576
	;; [unrolled: 1-line block ×6, first 2 shown]
	ds_load_u16 v75, v27
	ds_load_u16 v27, v21 offset:2352
	ds_load_u16 v76, v21 offset:2240
	;; [unrolled: 1-line block ×9, first 2 shown]
	ds_load_u16 v92, v21
	s_wait_loadcnt 0x4
	v_lshrrev_b32_e32 v81, 16, v0
	v_lshrrev_b32_e32 v82, 16, v1
	v_lshrrev_b32_e32 v83, 16, v2
	v_lshrrev_b32_e32 v84, 16, v3
	s_wait_dscnt 0x18
	v_mul_f16_e32 v86, v0, v18
	s_wait_dscnt 0x17
	v_mul_f16_e32 v87, v1, v19
	;; [unrolled: 2-line block ×3, first 2 shown]
	v_mul_f16_e32 v89, v2, v20
	v_mul_f16_e32 v19, v82, v19
	v_fmac_f16_e32 v86, v50, v81
	v_fmac_f16_e32 v87, v53, v82
	v_fmac_f16_e32 v88, v52, v84
	v_fmac_f16_e32 v89, v51, v83
	v_mul_f16_e32 v20, v83, v20
	v_mul_f16_e32 v18, v81, v18
	;; [unrolled: 1-line block ×3, first 2 shown]
	s_wait_loadcnt 0x3
	v_lshrrev_b32_e32 v22, 16, v54
	v_lshrrev_b32_e32 v81, 16, v55
	;; [unrolled: 1-line block ×4, first 2 shown]
	s_wait_dscnt 0x3
	v_mul_f16_e32 v84, v54, v85
	v_mul_f16_e32 v93, v55, v72
	;; [unrolled: 1-line block ×4, first 2 shown]
	v_sub_f16_e32 v96, v86, v87
	v_sub_f16_e32 v97, v88, v89
	v_fma_f16 v53, v53, v1, -v19
	v_fma_f16 v51, v51, v2, -v20
	;; [unrolled: 1-line block ×4, first 2 shown]
	v_add_f16_e32 v0, v87, v89
	v_sub_f16_e32 v52, v86, v88
	v_sub_f16_e32 v3, v87, v86
	;; [unrolled: 1-line block ×3, first 2 shown]
	v_add_f16_e32 v19, v86, v88
	v_add_f16_e32 v20, v86, v25
	v_fmac_f16_e32 v84, v46, v22
	v_fmac_f16_e32 v93, v47, v81
	v_fmac_f16_e32 v94, v49, v83
	v_fmac_f16_e32 v95, v48, v82
	v_mul_f16_e32 v21, v81, v72
	v_mul_f16_e32 v72, v82, v77
	;; [unrolled: 1-line block ×4, first 2 shown]
	s_wait_loadcnt 0x2
	v_lshrrev_b32_e32 v77, 16, v58
	v_lshrrev_b32_e32 v81, 16, v59
	;; [unrolled: 1-line block ×4, first 2 shown]
	s_wait_dscnt 0x2
	v_mul_f16_e32 v85, v58, v90
	v_mul_f16_e32 v86, v59, v73
	;; [unrolled: 1-line block ×4, first 2 shown]
	v_sub_f16_e32 v98, v87, v89
	v_add_f16_e32 v96, v96, v97
	v_sub_f16_e32 v97, v53, v51
	v_fma_f16 v1, -0.5, v0, v25
	v_sub_f16_e32 v102, v2, v53
	v_sub_f16_e32 v103, v50, v51
	v_add_f16_e32 v104, v53, v51
	v_add_f16_e32 v105, v3, v18
	v_fma_f16 v0, -0.5, v19, v25
	v_sub_f16_e32 v18, v53, v2
	v_sub_f16_e32 v25, v51, v50
	v_add_f16_e32 v106, v2, v50
	v_add_f16_e32 v20, v87, v20
	;; [unrolled: 1-line block ×3, first 2 shown]
	v_sub_f16_e32 v107, v84, v93
	v_sub_f16_e32 v108, v94, v95
	v_fma_f16 v47, v47, v55, -v21
	v_fma_f16 v48, v48, v56, -v72
	;; [unrolled: 1-line block ×4, first 2 shown]
	v_sub_f16_e32 v49, v84, v94
	v_sub_f16_e32 v24, v93, v84
	;; [unrolled: 1-line block ×3, first 2 shown]
	v_add_f16_e32 v56, v84, v94
	v_add_f16_e32 v57, v84, v23
	v_fmac_f16_e32 v85, v41, v77
	v_fmac_f16_e32 v86, v42, v81
	;; [unrolled: 1-line block ×4, first 2 shown]
	v_mul_f16_e32 v72, v81, v73
	v_mul_f16_e32 v73, v82, v78
	;; [unrolled: 1-line block ×4, first 2 shown]
	s_wait_loadcnt 0x1
	v_lshrrev_b32_e32 v78, 16, v62
	v_lshrrev_b32_e32 v81, 16, v63
	;; [unrolled: 1-line block ×4, first 2 shown]
	s_wait_dscnt 0x1
	v_mul_f16_e32 v84, v62, v91
	v_mul_f16_e32 v90, v63, v74
	;; [unrolled: 1-line block ×4, first 2 shown]
	v_sub_f16_e32 v101, v2, v50
	v_add_f16_e32 v22, v93, v95
	v_sub_f16_e32 v54, v93, v95
	v_add_f16_e32 v102, v102, v103
	v_fma_f16 v19, -0.5, v104, v45
	v_fmamk_f16 v3, v97, 0xbb9c, v0
	v_add_f16_e32 v103, v18, v25
	v_fma_f16 v18, -0.5, v106, v45
	v_fmac_f16_e32 v0, 0x3b9c, v97
	v_add_f16_e32 v45, v89, v20
	v_add_f16_e32 v53, v87, v53
	;; [unrolled: 1-line block ×3, first 2 shown]
	v_sub_f16_e32 v106, v21, v47
	v_sub_f16_e32 v107, v46, v48
	v_add_f16_e32 v108, v47, v48
	v_add_f16_e32 v55, v24, v55
	v_fma_f16 v24, -0.5, v56, v23
	v_sub_f16_e32 v56, v47, v21
	v_sub_f16_e32 v111, v48, v46
	v_add_f16_e32 v112, v21, v46
	v_add_f16_e32 v57, v93, v57
	v_add_f16_e32 v93, v40, v21
	v_sub_f16_e32 v113, v85, v86
	v_fma_f16 v59, v42, v59, -v72
	v_fma_f16 v43, v43, v60, -v73
	;; [unrolled: 1-line block ×4, first 2 shown]
	v_add_f16_e32 v42, v86, v100
	v_sub_f16_e32 v60, v85, v99
	v_sub_f16_e32 v72, v86, v85
	;; [unrolled: 1-line block ×3, first 2 shown]
	v_add_f16_e32 v77, v85, v99
	v_add_f16_e32 v85, v85, v70
	v_fmac_f16_e32 v84, v37, v78
	v_fmac_f16_e32 v90, v39, v81
	;; [unrolled: 1-line block ×4, first 2 shown]
	v_mul_f16_e32 v74, v81, v74
	v_mul_f16_e32 v78, v78, v91
	;; [unrolled: 1-line block ×3, first 2 shown]
	v_fmamk_f16 v2, v101, 0x3b9c, v1
	v_fmac_f16_e32 v1, 0xbb9c, v101
	v_sub_f16_e32 v89, v47, v48
	v_sub_f16_e32 v104, v21, v46
	v_fma_f16 v25, -0.5, v22, v23
	v_sub_f16_e32 v61, v86, v100
	v_mul_f16_e32 v79, v82, v79
	s_wait_loadcnt 0x0
	v_lshrrev_b32_e32 v82, 16, v66
	v_lshrrev_b32_e32 v83, 16, v67
	;; [unrolled: 1-line block ×4, first 2 shown]
	v_mul_f16_e32 v116, v66, v26
	v_mul_f16_e32 v117, v67, v75
	;; [unrolled: 1-line block ×3, first 2 shown]
	v_fmac_f16_e32 v3, 0x38b4, v101
	v_fmamk_f16 v21, v98, 0x3b9c, v18
	v_fmac_f16_e32 v0, 0xb8b4, v101
	v_fmac_f16_e32 v18, 0xbb9c, v98
	v_add_f16_e32 v22, v88, v45
	v_add_f16_e32 v45, v53, v51
	;; [unrolled: 1-line block ×3, first 2 shown]
	v_fma_f16 v41, -0.5, v108, v40
	v_add_f16_e32 v53, v56, v111
	v_fma_f16 v30, -0.5, v112, v40
	v_add_f16_e32 v56, v95, v57
	v_add_f16_e32 v47, v93, v47
	v_sub_f16_e32 v93, v58, v44
	v_fma_f16 v42, -0.5, v42, v70
	v_sub_f16_e32 v95, v58, v59
	v_add_f16_e32 v101, v59, v43
	v_add_f16_e32 v72, v72, v73
	v_fma_f16 v40, -0.5, v77, v70
	v_sub_f16_e32 v70, v59, v58
	v_sub_f16_e32 v73, v43, v44
	v_add_f16_e32 v77, v58, v44
	v_add_f16_e32 v85, v86, v85
	;; [unrolled: 1-line block ×3, first 2 shown]
	v_sub_f16_e32 v86, v84, v90
	v_sub_f16_e32 v106, v109, v110
	v_fma_f16 v63, v39, v63, -v74
	v_fma_f16 v62, v37, v62, -v78
	v_fma_f16 v65, v36, v65, -v81
	v_mul_f16_e32 v118, v69, v76
	v_fmamk_f16 v20, v52, 0xbb9c, v19
	v_fmac_f16_e32 v19, 0x3b9c, v52
	v_fmamk_f16 v27, v89, 0xbb9c, v24
	v_fmac_f16_e32 v24, 0x3b9c, v89
	v_fma_f16 v64, v38, v64, -v79
	v_add_f16_e32 v74, v90, v110
	v_sub_f16_e32 v78, v84, v109
	v_sub_f16_e32 v81, v90, v84
	v_add_f16_e32 v108, v84, v109
	v_add_f16_e32 v84, v84, v71
	v_fmac_f16_e32 v116, v32, v82
	v_fmac_f16_e32 v117, v29, v83
	;; [unrolled: 1-line block ×3, first 2 shown]
	v_mul_f16_e32 v75, v83, v75
	v_mul_f16_e32 v80, v91, v80
	;; [unrolled: 1-line block ×4, first 2 shown]
	v_fmac_f16_e32 v21, 0xb8b4, v52
	v_fmac_f16_e32 v18, 0x38b4, v52
	v_add_f16_e32 v26, v50, v45
	v_fmamk_f16 v36, v49, 0xbb9c, v41
	v_fmac_f16_e32 v41, 0x3b9c, v49
	v_add_f16_e32 v45, v47, v48
	v_fma_f16 v52, -0.5, v101, v34
	v_add_f16_e32 v48, v70, v73
	v_fma_f16 v70, -0.5, v77, v34
	v_add_f16_e32 v50, v58, v59
	v_add_f16_e32 v58, v86, v106
	v_sub_f16_e32 v73, v62, v65
	v_sub_f16_e32 v77, v62, v63
	;; [unrolled: 1-line block ×3, first 2 shown]
	v_add_f16_e32 v91, v62, v65
	v_add_f16_e32 v62, v31, v62
	v_fmac_f16_e32 v2, 0x38b4, v97
	v_fmac_f16_e32 v1, 0xb8b4, v97
	v_sub_f16_e32 v97, v44, v43
	v_fmac_f16_e32 v118, v33, v115
	v_fmac_f16_e32 v27, 0x38b4, v104
	v_fmamk_f16 v37, v54, 0x3b9c, v30
	v_fmac_f16_e32 v24, 0xb8b4, v104
	v_fmac_f16_e32 v30, 0xbb9c, v54
	v_add_f16_e32 v34, v100, v85
	v_fma_f16 v74, -0.5, v74, v71
	v_add_f16_e32 v85, v63, v64
	v_add_f16_e32 v84, v90, v84
	v_fma_f16 v67, v29, v67, -v75
	v_fma_f16 v35, v35, v68, -v80
	;; [unrolled: 1-line block ×4, first 2 shown]
	v_add_f16_e32 v32, v117, v119
	v_fmac_f16_e32 v36, 0xb8b4, v54
	v_fmac_f16_e32 v41, 0x38b4, v54
	v_add_f16_e32 v29, v46, v45
	v_fmamk_f16 v54, v60, 0xbb9c, v52
	v_fmac_f16_e32 v52, 0x3b9c, v60
	v_add_f16_e32 v33, v50, v43
	v_add_f16_e32 v45, v62, v63
	v_sub_f16_e32 v88, v59, v43
	v_sub_f16_e32 v79, v90, v110
	v_add_f16_e32 v47, v95, v97
	v_sub_f16_e32 v59, v63, v64
	v_sub_f16_e32 v83, v65, v64
	v_fma_f16 v71, -0.5, v108, v71
	v_sub_f16_e32 v90, v116, v117
	v_fmac_f16_e32 v27, 0x34f2, v55
	v_fmac_f16_e32 v37, 0xb8b4, v49
	;; [unrolled: 1-line block ×4, first 2 shown]
	v_fmamk_f16 v55, v61, 0x3b9c, v70
	v_fmac_f16_e32 v70, 0xbb9c, v61
	v_fmamk_f16 v75, v73, 0x3b9c, v74
	v_fma_f16 v76, -0.5, v85, v31
	v_fma_f16 v80, -0.5, v91, v31
	v_fmac_f16_e32 v74, 0xbb9c, v73
	v_add_f16_e32 v31, v110, v84
	s_wait_dscnt 0x0
	v_fma_f16 v49, -0.5, v32, v92
	v_fmac_f16_e32 v36, 0x34f2, v51
	v_fmac_f16_e32 v41, 0x34f2, v51
	;; [unrolled: 1-line block ×4, first 2 shown]
	v_add_f16_e32 v51, v44, v33
	v_add_f16_e32 v32, v45, v64
	v_sub_f16_e32 v33, v118, v119
	v_sub_f16_e32 v114, v99, v100
	v_fmamk_f16 v39, v93, 0x3b9c, v42
	v_fmac_f16_e32 v42, 0xbb9c, v93
	v_add_f16_e32 v69, v99, v34
	v_add_f16_e32 v34, v77, v83
	v_fmamk_f16 v77, v59, 0xbb9c, v71
	v_fmac_f16_e32 v71, 0x3b9c, v59
	v_fmac_f16_e32 v55, 0xb8b4, v60
	;; [unrolled: 1-line block ×7, first 2 shown]
	v_add_f16_e32 v59, v109, v31
	v_add_f16_e32 v60, v65, v32
	;; [unrolled: 1-line block ×4, first 2 shown]
	v_sub_f16_e32 v32, v66, v67
	v_sub_f16_e32 v33, v68, v35
	v_fmamk_f16 v23, v104, 0x3b9c, v25
	v_fmac_f16_e32 v25, 0xbb9c, v104
	v_add_f16_e32 v57, v113, v114
	v_fmac_f16_e32 v39, 0x38b4, v88
	v_fmac_f16_e32 v42, 0xb8b4, v88
	;; [unrolled: 1-line block ×4, first 2 shown]
	v_fmamk_f16 v53, v78, 0xbb9c, v76
	v_fmac_f16_e32 v76, 0x3b9c, v78
	v_add_f16_e32 v38, v94, v56
	v_fmamk_f16 v56, v88, 0xbb9c, v40
	v_fmac_f16_e32 v40, 0x3b9c, v88
	v_fmac_f16_e32 v55, 0x34f2, v48
	;; [unrolled: 1-line block ×3, first 2 shown]
	v_fma_f16 v48, -0.5, v31, v28
	v_add_f16_e32 v31, v116, v118
	v_add_f16_e32 v50, v32, v33
	v_add_f16_e32 v32, v66, v68
	v_fmac_f16_e32 v23, 0x38b4, v89
	v_fmac_f16_e32 v25, 0xb8b4, v89
	v_sub_f16_e32 v89, v64, v65
	v_fmac_f16_e32 v39, 0x34f2, v57
	v_fmac_f16_e32 v42, 0x34f2, v57
	v_fmamk_f16 v57, v79, 0x3b9c, v80
	v_fmac_f16_e32 v80, 0xbb9c, v79
	v_fmac_f16_e32 v53, 0xb8b4, v79
	v_fmac_f16_e32 v76, 0x38b4, v79
	v_fmac_f16_e32 v56, 0x38b4, v93
	v_fmac_f16_e32 v40, 0xb8b4, v93
	v_fma_f16 v62, -0.5, v31, v92
	v_sub_f16_e32 v31, v117, v116
	v_fma_f16 v63, -0.5, v32, v28
	v_sub_f16_e32 v32, v119, v118
	v_add_f16_e32 v43, v86, v89
	v_fmac_f16_e32 v57, 0xb8b4, v78
	v_fmac_f16_e32 v80, 0x38b4, v78
	;; [unrolled: 1-line block ×4, first 2 shown]
	v_sub_f16_e32 v34, v67, v35
	v_sub_f16_e32 v44, v117, v119
	;; [unrolled: 1-line block ×5, first 2 shown]
	v_fmac_f16_e32 v56, 0x34f2, v72
	v_fmac_f16_e32 v40, 0x34f2, v72
	v_add_f16_e32 v72, v31, v32
	v_mad_co_u64_u32 v[31:32], null, s8, v9, 0
	v_fmac_f16_e32 v57, 0x34f2, v43
	v_fmac_f16_e32 v80, 0x34f2, v43
	v_sub_f16_e32 v43, v116, v118
	v_fmamk_f16 v64, v34, 0xbb9c, v62
	v_fmamk_f16 v65, v44, 0x3b9c, v63
	v_fmac_f16_e32 v62, 0x3b9c, v34
	v_fmac_f16_e32 v63, 0xbb9c, v44
	;; [unrolled: 1-line block ×4, first 2 shown]
	v_fmamk_f16 v58, v46, 0x3b9c, v49
	v_add_f16_e32 v33, v33, v45
	v_fmac_f16_e32 v49, 0xbb9c, v46
	v_add_f16_e32 v45, v116, v92
	v_fmac_f16_e32 v64, 0x38b4, v46
	v_fmac_f16_e32 v65, 0xb8b4, v43
	;; [unrolled: 1-line block ×4, first 2 shown]
	v_add_f16_e32 v46, v28, v66
	v_mov_b32_e32 v28, v32
	v_fmac_f16_e32 v58, 0x38b4, v34
	v_fmac_f16_e32 v49, 0xb8b4, v34
	v_add_f16_e32 v34, v117, v45
	v_fmac_f16_e32 v65, 0x34f2, v33
	v_fmac_f16_e32 v63, 0x34f2, v33
	v_add_f16_e32 v45, v46, v67
	v_mad_co_u64_u32 v[32:33], null, s9, v9, v[28:29]
	v_add_f16_e32 v28, v119, v34
	v_mad_co_u64_u32 v[33:34], null, s8, v17, 0
	v_fmamk_f16 v61, v43, 0xbb9c, v48
	v_fmac_f16_e32 v48, 0x3b9c, v43
	v_add_f16_e32 v35, v45, v35
	v_add_co_u32 v66, vcc_lo, s10, v4
	s_delay_alu instid0(VALU_DEP_4) | instskip(NEXT) | instid1(VALU_DEP_4)
	v_fmac_f16_e32 v61, 0xb8b4, v44
	v_fmac_f16_e32 v48, 0x38b4, v44
	v_mad_co_u64_u32 v[43:44], null, s8, v16, 0
	v_mov_b32_e32 v4, v34
	v_add_f16_e32 v35, v68, v35
	v_lshlrev_b64_e32 v[31:32], 2, v[31:32]
	v_add_nc_u32_e32 v68, 0x348, v9
	v_add_f16_e32 v28, v118, v28
	s_wait_alu 0xfffd
	v_add_co_ci_u32_e32 v67, vcc_lo, s11, v5, vcc_lo
	v_mad_co_u64_u32 v[4:5], null, s9, v17, v[4:5]
	v_mov_b32_e32 v5, v44
	v_mad_co_u64_u32 v[45:46], null, s8, v68, 0
	v_add_co_u32 v31, vcc_lo, v66, v31
	s_wait_alu 0xfffd
	v_add_co_ci_u32_e32 v32, vcc_lo, v67, v32, vcc_lo
	v_pack_b32_f16 v28, v35, v28
	v_mad_co_u64_u32 v[16:17], null, s9, v16, v[5:6]
	v_mov_b32_e32 v34, v4
	v_mov_b32_e32 v4, v46
	global_store_b32 v[31:32], v28, off
	v_add_nc_u32_e32 v28, 0x460, v9
	v_fmac_f16_e32 v49, 0x34f2, v47
	v_lshlrev_b64_e32 v[31:32], 2, v[33:34]
	v_mov_b32_e32 v44, v16
	v_mad_co_u64_u32 v[4:5], null, s9, v68, v[4:5]
	v_mad_co_u64_u32 v[16:17], null, s8, v28, 0
	v_fmac_f16_e32 v48, 0x34f2, v50
	s_delay_alu instid0(VALU_DEP_4)
	v_lshlrev_b64_e32 v[33:34], 2, v[43:44]
	v_mad_co_u64_u32 v[43:44], null, s8, v15, 0
	v_mov_b32_e32 v46, v4
	v_fmac_f16_e32 v58, 0x34f2, v47
	v_mov_b32_e32 v4, v17
	v_add_co_u32 v31, vcc_lo, v66, v31
	v_pack_b32_f16 v35, v48, v49
	v_lshlrev_b64_e32 v[45:46], 2, v[45:46]
	s_delay_alu instid0(VALU_DEP_4)
	v_mad_co_u64_u32 v[4:5], null, s9, v28, v[4:5]
	v_mad_co_u64_u32 v[47:48], null, s8, v14, 0
	v_fmac_f16_e32 v62, 0x34f2, v72
	s_wait_alu 0xfffd
	v_add_co_ci_u32_e32 v32, vcc_lo, v67, v32, vcc_lo
	v_fmac_f16_e32 v64, 0x34f2, v72
	v_add_co_u32 v33, vcc_lo, v66, v33
	v_mov_b32_e32 v5, v44
	s_wait_alu 0xfffd
	v_add_co_ci_u32_e32 v34, vcc_lo, v67, v34, vcc_lo
	v_add_co_u32 v44, vcc_lo, v66, v45
	v_pack_b32_f16 v62, v63, v62
	v_fmac_f16_e32 v61, 0x34f2, v50
	s_wait_alu 0xfffd
	v_add_co_ci_u32_e32 v45, vcc_lo, v67, v46, vcc_lo
	v_mad_co_u64_u32 v[49:50], null, s9, v15, v[5:6]
	v_mov_b32_e32 v17, v4
	v_pack_b32_f16 v5, v65, v64
	v_mov_b32_e32 v4, v48
	s_clause 0x1
	global_store_b32 v[31:32], v35, off
	global_store_b32 v[33:34], v62, off
	v_mad_co_u64_u32 v[31:32], null, s8, v7, 0
	global_store_b32 v[44:45], v5, off
	v_mad_co_u64_u32 v[4:5], null, s9, v14, v[4:5]
	v_lshlrev_b64_e32 v[15:16], 2, v[16:17]
	v_mov_b32_e32 v44, v49
	v_pack_b32_f16 v49, v61, v58
	v_pack_b32_f16 v58, v60, v59
	v_add_nc_u32_e32 v59, 0x498, v9
	v_or_b32_e32 v50, 0x380, v9
	v_mov_b32_e32 v28, v32
	v_add_co_u32 v14, vcc_lo, v66, v15
	v_mov_b32_e32 v48, v4
	s_wait_alu 0xfffd
	v_add_co_ci_u32_e32 v15, vcc_lo, v67, v16, vcc_lo
	v_lshlrev_b64_e32 v[16:17], 2, v[43:44]
	v_mad_co_u64_u32 v[43:44], null, s8, v59, 0
	v_mad_co_u64_u32 v[4:5], null, s8, v50, 0
	v_mad_co_u64_u32 v[34:35], null, s9, v7, v[28:29]
	v_lshlrev_b64_e32 v[32:33], 2, v[47:48]
	v_add_co_u32 v16, vcc_lo, v66, v16
	v_mov_b32_e32 v7, v44
	s_wait_alu 0xfffd
	v_add_co_ci_u32_e32 v17, vcc_lo, v67, v17, vcc_lo
	s_delay_alu instid0(VALU_DEP_4)
	v_add_co_u32 v45, vcc_lo, v66, v32
	v_mad_co_u64_u32 v[47:48], null, s9, v50, v[5:6]
	v_mov_b32_e32 v32, v34
	s_wait_alu 0xfffd
	v_add_co_ci_u32_e32 v46, vcc_lo, v67, v33, vcc_lo
	v_pack_b32_f16 v5, v76, v74
	s_clause 0x1
	global_store_b32 v[14:15], v49, off
	global_store_b32 v[16:17], v58, off
	v_mad_co_u64_u32 v[16:17], null, s9, v59, v[7:8]
	v_lshlrev_b64_e32 v[14:15], 2, v[31:32]
	v_mad_co_u64_u32 v[31:32], null, s8, v13, 0
	v_sub_f16_e32 v107, v110, v109
	global_store_b32 v[45:46], v5, off
	v_dual_mov_b32 v5, v47 :: v_dual_mov_b32 v44, v16
	v_fmac_f16_e32 v71, 0xb8b4, v73
	v_add_f16_e32 v81, v81, v107
	v_fmac_f16_e32 v77, 0x38b4, v73
	s_delay_alu instid0(VALU_DEP_4)
	v_lshlrev_b64_e32 v[4:5], 2, v[4:5]
	v_mov_b32_e32 v7, v32
	v_add_co_u32 v14, vcc_lo, v66, v14
	v_lshlrev_b64_e32 v[16:17], 2, v[43:44]
	v_mad_co_u64_u32 v[33:34], null, s8, v12, 0
	v_fmac_f16_e32 v71, 0x34f2, v81
	v_fmac_f16_e32 v77, 0x34f2, v81
	s_wait_alu 0xfffd
	v_add_co_ci_u32_e32 v15, vcc_lo, v67, v15, vcc_lo
	v_mad_co_u64_u32 v[43:44], null, s9, v13, v[7:8]
	v_add_co_u32 v4, vcc_lo, v66, v4
	v_mad_co_u64_u32 v[44:45], null, s8, v8, 0
	s_wait_alu 0xfffd
	v_add_co_ci_u32_e32 v5, vcc_lo, v67, v5, vcc_lo
	v_pack_b32_f16 v28, v80, v71
	v_add_co_u32 v16, vcc_lo, v66, v16
	v_pack_b32_f16 v35, v57, v77
	s_wait_alu 0xfffd
	v_add_co_ci_u32_e32 v17, vcc_lo, v67, v17, vcc_lo
	v_mov_b32_e32 v7, v34
	v_pack_b32_f16 v34, v53, v75
	s_clause 0x2
	global_store_b32 v[14:15], v28, off
	global_store_b32 v[4:5], v35, off
	;; [unrolled: 1-line block ×3, first 2 shown]
	v_mov_b32_e32 v4, v45
	v_add_nc_u32_e32 v28, 0x3b8, v9
	v_mad_co_u64_u32 v[12:13], null, s9, v12, v[7:8]
	v_mov_b32_e32 v32, v43
	s_delay_alu instid0(VALU_DEP_4) | instskip(NEXT) | instid1(VALU_DEP_4)
	v_mad_co_u64_u32 v[4:5], null, s9, v8, v[4:5]
	v_mad_co_u64_u32 v[7:8], null, s8, v28, 0
	s_delay_alu instid0(VALU_DEP_3) | instskip(SKIP_4) | instid1(VALU_DEP_4)
	v_lshlrev_b64_e32 v[13:14], 2, v[31:32]
	v_dual_mov_b32 v34, v12 :: v_dual_add_nc_u32 v43, 0x4d0, v9
	v_pack_b32_f16 v46, v52, v42
	v_mov_b32_e32 v45, v4
	v_pack_b32_f16 v35, v51, v69
	v_mad_co_u64_u32 v[16:17], null, s8, v43, 0
	v_add_co_u32 v12, vcc_lo, v66, v13
	v_mov_b32_e32 v4, v8
	s_wait_alu 0xfffd
	v_add_co_ci_u32_e32 v13, vcc_lo, v67, v14, vcc_lo
	v_lshlrev_b64_e32 v[14:15], 2, v[33:34]
	v_lshlrev_b64_e32 v[31:32], 2, v[44:45]
	v_mad_co_u64_u32 v[4:5], null, s9, v28, v[4:5]
	v_mad_co_u64_u32 v[33:34], null, s8, v11, 0
	v_mov_b32_e32 v5, v17
	v_add_co_u32 v14, vcc_lo, v66, v14
	s_wait_alu 0xfffd
	v_add_co_ci_u32_e32 v15, vcc_lo, v67, v15, vcc_lo
	v_add_co_u32 v31, vcc_lo, v66, v31
	v_mad_co_u64_u32 v[42:43], null, s9, v43, v[5:6]
	s_wait_alu 0xfffd
	v_add_co_ci_u32_e32 v32, vcc_lo, v67, v32, vcc_lo
	v_mov_b32_e32 v8, v4
	v_pack_b32_f16 v5, v70, v40
	v_mov_b32_e32 v4, v34
	s_clause 0x1
	global_store_b32 v[12:13], v35, off
	global_store_b32 v[14:15], v46, off
	v_mov_b32_e32 v17, v42
	v_lshlrev_b64_e32 v[7:8], 2, v[7:8]
	global_store_b32 v[31:32], v5, off
	v_mad_co_u64_u32 v[4:5], null, s9, v11, v[4:5]
	v_mad_co_u64_u32 v[13:14], null, s8, v10, 0
	v_lshlrev_b64_e32 v[11:12], 2, v[16:17]
	v_add_nc_u32_e32 v28, 0x2d8, v9
	v_add_co_u32 v7, vcc_lo, v66, v7
	v_mov_b32_e32 v34, v4
	s_wait_alu 0xfffd
	v_add_co_ci_u32_e32 v8, vcc_lo, v67, v8, vcc_lo
	v_add_co_u32 v4, vcc_lo, v66, v11
	v_mov_b32_e32 v11, v14
	v_lshlrev_b64_e32 v[14:15], 2, v[33:34]
	v_mad_co_u64_u32 v[16:17], null, s8, v28, 0
	v_add_nc_u32_e32 v33, 0x3f0, v9
	s_wait_alu 0xfffd
	v_add_co_ci_u32_e32 v5, vcc_lo, v67, v12, vcc_lo
	v_mad_co_u64_u32 v[10:11], null, s9, v10, v[11:12]
	s_delay_alu instid0(VALU_DEP_3)
	v_mad_co_u64_u32 v[31:32], null, s8, v33, 0
	v_add_co_u32 v11, vcc_lo, v66, v14
	v_pack_b32_f16 v35, v55, v56
	s_wait_alu 0xfffd
	v_add_co_ci_u32_e32 v12, vcc_lo, v67, v15, vcc_lo
	v_mov_b32_e32 v14, v17
	v_pack_b32_f16 v15, v29, v38
	v_pack_b32_f16 v39, v54, v39
	s_clause 0x2
	global_store_b32 v[7:8], v35, off
	global_store_b32 v[4:5], v39, off
	;; [unrolled: 1-line block ×3, first 2 shown]
	v_mad_co_u64_u32 v[28:29], null, s9, v28, v[14:15]
	v_dual_mov_b32 v4, v32 :: v_dual_add_nc_u32 v15, 0x508, v9
	v_mov_b32_e32 v14, v10
	v_fmac_f16_e32 v25, 0x34f2, v87
	v_fmac_f16_e32 v23, 0x34f2, v87
	s_delay_alu instid0(VALU_DEP_4)
	v_mad_co_u64_u32 v[4:5], null, s9, v33, v[4:5]
	v_mad_co_u64_u32 v[9:10], null, s8, v15, 0
	v_lshrrev_b32_e32 v5, 3, v6
	v_mov_b32_e32 v17, v28
	v_lshlrev_b64_e32 v[7:8], 2, v[13:14]
	v_fmac_f16_e32 v19, 0x38b4, v98
	v_mov_b32_e32 v32, v4
	v_fmac_f16_e32 v0, 0x34f2, v105
	v_mov_b32_e32 v4, v10
	v_mul_hi_u32 v10, 0xea0ea0f, v5
	v_lshlrev_b64_e32 v[11:12], 2, v[16:17]
	v_add_co_u32 v7, vcc_lo, v66, v7
	v_lshlrev_b64_e32 v[13:14], 2, v[31:32]
	v_mad_co_u64_u32 v[4:5], null, s9, v15, v[4:5]
	s_wait_alu 0xfffd
	v_add_co_ci_u32_e32 v8, vcc_lo, v67, v8, vcc_lo
	v_lshrrev_b32_e32 v5, 1, v10
	v_add_co_u32 v11, vcc_lo, v66, v11
	s_wait_alu 0xfffd
	v_add_co_ci_u32_e32 v12, vcc_lo, v67, v12, vcc_lo
	v_pack_b32_f16 v16, v41, v25
	v_pack_b32_f16 v17, v30, v24
	v_add_co_u32 v13, vcc_lo, v66, v13
	v_mad_u32_u24 v24, 0x460, v5, v6
	s_wait_alu 0xfffd
	v_add_co_ci_u32_e32 v14, vcc_lo, v67, v14, vcc_lo
	v_pack_b32_f16 v15, v37, v27
	v_mov_b32_e32 v10, v4
	s_clause 0x2
	global_store_b32 v[7:8], v16, off
	global_store_b32 v[11:12], v17, off
	;; [unrolled: 1-line block ×3, first 2 shown]
	v_add_nc_u32_e32 v14, 0x118, v24
	v_add_nc_u32_e32 v16, 0x230, v24
	v_lshlrev_b64_e32 v[4:5], 2, v[9:10]
	v_mad_co_u64_u32 v[6:7], null, s8, v24, 0
	s_delay_alu instid0(VALU_DEP_4) | instskip(NEXT) | instid1(VALU_DEP_4)
	v_mad_co_u64_u32 v[8:9], null, s8, v14, 0
	v_mad_co_u64_u32 v[10:11], null, s8, v16, 0
	v_pack_b32_f16 v17, v36, v23
	v_add_nc_u32_e32 v23, 0x348, v24
	v_add_co_u32 v4, vcc_lo, v66, v4
	v_mad_co_u64_u32 v[12:13], null, s9, v24, v[7:8]
	v_mad_co_u64_u32 v[13:14], null, s9, v14, v[9:10]
	v_mov_b32_e32 v9, v11
	v_mad_co_u64_u32 v[14:15], null, s8, v23, 0
	s_wait_alu 0xfffd
	v_add_co_ci_u32_e32 v5, vcc_lo, v67, v5, vcc_lo
	v_mov_b32_e32 v7, v12
	v_mad_co_u64_u32 v[11:12], null, s9, v16, v[9:10]
	v_dual_mov_b32 v9, v13 :: v_dual_add_nc_u32 v16, 0x460, v24
	global_store_b32 v[4:5], v17, off
	v_lshlrev_b64_e32 v[4:5], 2, v[6:7]
	v_mov_b32_e32 v6, v15
	v_mad_co_u64_u32 v[12:13], null, s8, v16, 0
	v_lshlrev_b64_e32 v[8:9], 2, v[8:9]
	v_lshlrev_b64_e32 v[10:11], 2, v[10:11]
	s_delay_alu instid0(VALU_DEP_4)
	v_mad_co_u64_u32 v[6:7], null, s9, v23, v[6:7]
	v_add_co_u32 v4, vcc_lo, v66, v4
	v_mov_b32_e32 v7, v13
	s_wait_alu 0xfffd
	v_add_co_ci_u32_e32 v5, vcc_lo, v67, v5, vcc_lo
	v_fmac_f16_e32 v1, 0x34f2, v96
	v_mov_b32_e32 v15, v6
	v_mad_co_u64_u32 v[16:17], null, s9, v16, v[7:8]
	v_fmac_f16_e32 v18, 0x34f2, v103
	v_fmac_f16_e32 v19, 0x34f2, v102
	v_add_co_u32 v6, vcc_lo, v66, v8
	s_wait_alu 0xfffd
	v_add_co_ci_u32_e32 v7, vcc_lo, v67, v9, vcc_lo
	v_mov_b32_e32 v13, v16
	v_lshlrev_b64_e32 v[8:9], 2, v[14:15]
	v_fmac_f16_e32 v20, 0xb8b4, v98
	v_pack_b32_f16 v17, v19, v1
	v_add_co_u32 v10, vcc_lo, v66, v10
	v_pack_b32_f16 v14, v18, v0
	v_lshlrev_b64_e32 v[0:1], 2, v[12:13]
	v_fmac_f16_e32 v3, 0x34f2, v105
	v_fmac_f16_e32 v21, 0x34f2, v103
	s_wait_alu 0xfffd
	v_add_co_ci_u32_e32 v11, vcc_lo, v67, v11, vcc_lo
	v_fmac_f16_e32 v2, 0x34f2, v96
	v_fmac_f16_e32 v20, 0x34f2, v102
	v_add_co_u32 v8, vcc_lo, v66, v8
	v_pack_b32_f16 v22, v26, v22
	s_wait_alu 0xfffd
	v_add_co_ci_u32_e32 v9, vcc_lo, v67, v9, vcc_lo
	v_add_co_u32 v0, vcc_lo, v66, v0
	v_pack_b32_f16 v3, v21, v3
	s_wait_alu 0xfffd
	v_add_co_ci_u32_e32 v1, vcc_lo, v67, v1, vcc_lo
	v_pack_b32_f16 v2, v20, v2
	s_clause 0x4
	global_store_b32 v[4:5], v22, off
	global_store_b32 v[6:7], v17, off
	;; [unrolled: 1-line block ×5, first 2 shown]
.LBB0_45:
	s_nop 0
	s_sendmsg sendmsg(MSG_DEALLOC_VGPRS)
	s_endpgm
	.section	.rodata,"a",@progbits
	.p2align	6, 0x0
	.amdhsa_kernel fft_rtc_fwd_len1400_factors_2_2_2_5_7_5_wgs_56_tpt_56_halfLds_half_ip_CI_sbrr_dirReg
		.amdhsa_group_segment_fixed_size 0
		.amdhsa_private_segment_fixed_size 0
		.amdhsa_kernarg_size 88
		.amdhsa_user_sgpr_count 2
		.amdhsa_user_sgpr_dispatch_ptr 0
		.amdhsa_user_sgpr_queue_ptr 0
		.amdhsa_user_sgpr_kernarg_segment_ptr 1
		.amdhsa_user_sgpr_dispatch_id 0
		.amdhsa_user_sgpr_private_segment_size 0
		.amdhsa_wavefront_size32 1
		.amdhsa_uses_dynamic_stack 0
		.amdhsa_enable_private_segment 0
		.amdhsa_system_sgpr_workgroup_id_x 1
		.amdhsa_system_sgpr_workgroup_id_y 0
		.amdhsa_system_sgpr_workgroup_id_z 0
		.amdhsa_system_sgpr_workgroup_info 0
		.amdhsa_system_vgpr_workitem_id 0
		.amdhsa_next_free_vgpr 149
		.amdhsa_next_free_sgpr 35
		.amdhsa_reserve_vcc 1
		.amdhsa_float_round_mode_32 0
		.amdhsa_float_round_mode_16_64 0
		.amdhsa_float_denorm_mode_32 3
		.amdhsa_float_denorm_mode_16_64 3
		.amdhsa_fp16_overflow 0
		.amdhsa_workgroup_processor_mode 1
		.amdhsa_memory_ordered 1
		.amdhsa_forward_progress 0
		.amdhsa_round_robin_scheduling 0
		.amdhsa_exception_fp_ieee_invalid_op 0
		.amdhsa_exception_fp_denorm_src 0
		.amdhsa_exception_fp_ieee_div_zero 0
		.amdhsa_exception_fp_ieee_overflow 0
		.amdhsa_exception_fp_ieee_underflow 0
		.amdhsa_exception_fp_ieee_inexact 0
		.amdhsa_exception_int_div_zero 0
	.end_amdhsa_kernel
	.text
.Lfunc_end0:
	.size	fft_rtc_fwd_len1400_factors_2_2_2_5_7_5_wgs_56_tpt_56_halfLds_half_ip_CI_sbrr_dirReg, .Lfunc_end0-fft_rtc_fwd_len1400_factors_2_2_2_5_7_5_wgs_56_tpt_56_halfLds_half_ip_CI_sbrr_dirReg
                                        ; -- End function
	.section	.AMDGPU.csdata,"",@progbits
; Kernel info:
; codeLenInByte = 20552
; NumSgprs: 37
; NumVgprs: 149
; ScratchSize: 0
; MemoryBound: 0
; FloatMode: 240
; IeeeMode: 1
; LDSByteSize: 0 bytes/workgroup (compile time only)
; SGPRBlocks: 4
; VGPRBlocks: 18
; NumSGPRsForWavesPerEU: 37
; NumVGPRsForWavesPerEU: 149
; Occupancy: 9
; WaveLimiterHint : 1
; COMPUTE_PGM_RSRC2:SCRATCH_EN: 0
; COMPUTE_PGM_RSRC2:USER_SGPR: 2
; COMPUTE_PGM_RSRC2:TRAP_HANDLER: 0
; COMPUTE_PGM_RSRC2:TGID_X_EN: 1
; COMPUTE_PGM_RSRC2:TGID_Y_EN: 0
; COMPUTE_PGM_RSRC2:TGID_Z_EN: 0
; COMPUTE_PGM_RSRC2:TIDIG_COMP_CNT: 0
	.text
	.p2alignl 7, 3214868480
	.fill 96, 4, 3214868480
	.type	__hip_cuid_b2e2b5797028af56,@object ; @__hip_cuid_b2e2b5797028af56
	.section	.bss,"aw",@nobits
	.globl	__hip_cuid_b2e2b5797028af56
__hip_cuid_b2e2b5797028af56:
	.byte	0                               ; 0x0
	.size	__hip_cuid_b2e2b5797028af56, 1

	.ident	"AMD clang version 19.0.0git (https://github.com/RadeonOpenCompute/llvm-project roc-6.4.0 25133 c7fe45cf4b819c5991fe208aaa96edf142730f1d)"
	.section	".note.GNU-stack","",@progbits
	.addrsig
	.addrsig_sym __hip_cuid_b2e2b5797028af56
	.amdgpu_metadata
---
amdhsa.kernels:
  - .args:
      - .actual_access:  read_only
        .address_space:  global
        .offset:         0
        .size:           8
        .value_kind:     global_buffer
      - .offset:         8
        .size:           8
        .value_kind:     by_value
      - .actual_access:  read_only
        .address_space:  global
        .offset:         16
        .size:           8
        .value_kind:     global_buffer
      - .actual_access:  read_only
        .address_space:  global
        .offset:         24
        .size:           8
        .value_kind:     global_buffer
      - .offset:         32
        .size:           8
        .value_kind:     by_value
      - .actual_access:  read_only
        .address_space:  global
        .offset:         40
        .size:           8
        .value_kind:     global_buffer
      - .actual_access:  read_only
        .address_space:  global
        .offset:         48
        .size:           8
        .value_kind:     global_buffer
      - .offset:         56
        .size:           4
        .value_kind:     by_value
      - .actual_access:  read_only
        .address_space:  global
        .offset:         64
        .size:           8
        .value_kind:     global_buffer
      - .actual_access:  read_only
        .address_space:  global
        .offset:         72
        .size:           8
        .value_kind:     global_buffer
      - .address_space:  global
        .offset:         80
        .size:           8
        .value_kind:     global_buffer
    .group_segment_fixed_size: 0
    .kernarg_segment_align: 8
    .kernarg_segment_size: 88
    .language:       OpenCL C
    .language_version:
      - 2
      - 0
    .max_flat_workgroup_size: 56
    .name:           fft_rtc_fwd_len1400_factors_2_2_2_5_7_5_wgs_56_tpt_56_halfLds_half_ip_CI_sbrr_dirReg
    .private_segment_fixed_size: 0
    .sgpr_count:     37
    .sgpr_spill_count: 0
    .symbol:         fft_rtc_fwd_len1400_factors_2_2_2_5_7_5_wgs_56_tpt_56_halfLds_half_ip_CI_sbrr_dirReg.kd
    .uniform_work_group_size: 1
    .uses_dynamic_stack: false
    .vgpr_count:     149
    .vgpr_spill_count: 0
    .wavefront_size: 32
    .workgroup_processor_mode: 1
amdhsa.target:   amdgcn-amd-amdhsa--gfx1201
amdhsa.version:
  - 1
  - 2
...

	.end_amdgpu_metadata
